;; amdgpu-corpus repo=ROCm/rocFFT kind=compiled arch=gfx1201 opt=O3
	.text
	.amdgcn_target "amdgcn-amd-amdhsa--gfx1201"
	.amdhsa_code_object_version 6
	.protected	bluestein_single_fwd_len605_dim1_sp_op_CI_CI ; -- Begin function bluestein_single_fwd_len605_dim1_sp_op_CI_CI
	.globl	bluestein_single_fwd_len605_dim1_sp_op_CI_CI
	.p2align	8
	.type	bluestein_single_fwd_len605_dim1_sp_op_CI_CI,@function
bluestein_single_fwd_len605_dim1_sp_op_CI_CI: ; @bluestein_single_fwd_len605_dim1_sp_op_CI_CI
; %bb.0:
	s_load_b128 s[12:15], s[0:1], 0x28
	v_mul_u32_u24_e32 v1, 0x4a8, v0
	s_mov_b32 s2, exec_lo
	v_mov_b32_e32 v73, 0
	s_delay_alu instid0(VALU_DEP_2) | instskip(NEXT) | instid1(VALU_DEP_1)
	v_lshrrev_b32_e32 v1, 16, v1
	v_add_nc_u32_e32 v72, ttmp9, v1
	s_wait_kmcnt 0x0
	s_delay_alu instid0(VALU_DEP_1)
	v_cmpx_gt_u64_e64 s[12:13], v[72:73]
	s_cbranch_execz .LBB0_10
; %bb.1:
	s_clause 0x1
	s_load_b128 s[4:7], s[0:1], 0x18
	s_load_b128 s[8:11], s[0:1], 0x0
	v_mul_lo_u16 v1, v1, 55
	s_load_b64 s[0:1], s[0:1], 0x38
	s_delay_alu instid0(VALU_DEP_1) | instskip(NEXT) | instid1(VALU_DEP_1)
	v_sub_nc_u16 v4, v0, v1
	v_and_b32_e32 v99, 0xffff, v4
	s_delay_alu instid0(VALU_DEP_1)
	v_lshlrev_b32_e32 v100, 3, v99
	s_wait_kmcnt 0x0
	s_load_b128 s[16:19], s[4:5], 0x0
	s_clause 0x8
	global_load_b64 v[93:94], v100, s[8:9]
	global_load_b64 v[89:90], v100, s[8:9] offset:440
	global_load_b64 v[91:92], v100, s[8:9] offset:880
	;; [unrolled: 1-line block ×8, first 2 shown]
	s_wait_kmcnt 0x0
	v_mad_co_u64_u32 v[0:1], null, s18, v72, 0
	v_mad_co_u64_u32 v[2:3], null, s16, v99, 0
	s_mul_u64 s[2:3], s[16:17], 0x1b8
	s_delay_alu instid0(VALU_DEP_1) | instskip(NEXT) | instid1(VALU_DEP_2)
	v_mad_co_u64_u32 v[5:6], null, s19, v72, v[1:2]
	v_mad_co_u64_u32 v[6:7], null, s17, v99, v[3:4]
	s_delay_alu instid0(VALU_DEP_2) | instskip(NEXT) | instid1(VALU_DEP_2)
	v_mov_b32_e32 v1, v5
	v_mov_b32_e32 v3, v6
	s_delay_alu instid0(VALU_DEP_2) | instskip(NEXT) | instid1(VALU_DEP_2)
	v_lshlrev_b64_e32 v[0:1], 3, v[0:1]
	v_lshlrev_b64_e32 v[2:3], 3, v[2:3]
	s_delay_alu instid0(VALU_DEP_2) | instskip(NEXT) | instid1(VALU_DEP_3)
	v_add_co_u32 v0, vcc_lo, s14, v0
	v_add_co_ci_u32_e32 v1, vcc_lo, s15, v1, vcc_lo
	s_delay_alu instid0(VALU_DEP_2) | instskip(SKIP_1) | instid1(VALU_DEP_2)
	v_add_co_u32 v0, vcc_lo, v0, v2
	s_wait_alu 0xfffd
	v_add_co_ci_u32_e32 v1, vcc_lo, v1, v3, vcc_lo
	s_delay_alu instid0(VALU_DEP_2) | instskip(SKIP_1) | instid1(VALU_DEP_2)
	v_add_co_u32 v2, vcc_lo, v0, s2
	s_wait_alu 0xfffd
	;; [unrolled: 4-line block ×3, first 2 shown]
	v_add_co_ci_u32_e32 v6, vcc_lo, s3, v3, vcc_lo
	s_clause 0x1
	global_load_b64 v[0:1], v[0:1], off
	global_load_b64 v[2:3], v[2:3], off
	v_add_co_u32 v7, vcc_lo, v5, s2
	s_wait_alu 0xfffd
	v_add_co_ci_u32_e32 v8, vcc_lo, s3, v6, vcc_lo
	s_delay_alu instid0(VALU_DEP_2) | instskip(SKIP_1) | instid1(VALU_DEP_2)
	v_add_co_u32 v9, vcc_lo, v7, s2
	s_wait_alu 0xfffd
	v_add_co_ci_u32_e32 v10, vcc_lo, s3, v8, vcc_lo
	s_clause 0x1
	global_load_b64 v[11:12], v[5:6], off
	global_load_b64 v[7:8], v[7:8], off
	v_add_co_u32 v5, vcc_lo, v9, s2
	s_wait_alu 0xfffd
	v_add_co_ci_u32_e32 v6, vcc_lo, s3, v10, vcc_lo
	global_load_b64 v[9:10], v[9:10], off
	v_add_co_u32 v13, vcc_lo, v5, s2
	s_wait_alu 0xfffd
	v_add_co_ci_u32_e32 v14, vcc_lo, s3, v6, vcc_lo
	;; [unrolled: 4-line block ×6, first 2 shown]
	global_load_b64 v[23:24], v[5:6], off
	s_clause 0x1
	global_load_b64 v[85:86], v100, s[8:9] offset:3960
	global_load_b64 v[87:88], v100, s[8:9] offset:4400
	global_load_b64 v[21:22], v[21:22], off
	v_add_nc_u32_e32 v6, 0x400, v100
	s_load_b128 s[4:7], s[6:7], 0x0
	v_cmp_gt_u16_e32 vcc_lo, 11, v4
	s_wait_loadcnt 0xc
	v_mul_f32_e32 v25, v1, v94
	s_wait_loadcnt 0xb
	v_mul_f32_e32 v27, v3, v90
	v_mul_f32_e32 v5, v0, v94
	v_mul_f32_e32 v28, v2, v90
	s_delay_alu instid0(VALU_DEP_3) | instskip(NEXT) | instid1(VALU_DEP_2)
	v_fmac_f32_e32 v27, v2, v89
	v_fma_f32 v28, v3, v89, -v28
	s_wait_loadcnt 0x9
	v_mul_f32_e32 v2, v8, v76
	v_fmac_f32_e32 v25, v0, v93
	v_mul_f32_e32 v0, v12, v92
	v_mul_f32_e32 v3, v7, v76
	s_wait_loadcnt 0x8
	v_dual_fmac_f32 v2, v7, v75 :: v_dual_mul_f32 v7, v10, v82
	s_delay_alu instid0(VALU_DEP_3)
	v_fmac_f32_e32 v0, v11, v91
	v_fma_f32 v26, v1, v93, -v5
	v_mul_f32_e32 v1, v11, v92
	s_wait_loadcnt 0x7
	v_mul_f32_e32 v11, v16, v84
	v_fmac_f32_e32 v7, v9, v81
	v_add_nc_u32_e32 v5, 0x800, v100
	v_fma_f32 v3, v8, v75, -v3
	v_fma_f32 v1, v12, v91, -v1
	v_mul_f32_e32 v12, v9, v82
	ds_store_2addr_b64 v100, v[25:26], v[27:28] offset1:55
	v_mul_f32_e32 v25, v15, v84
	s_wait_loadcnt 0x6
	v_mul_f32_e32 v9, v14, v74
	v_fmac_f32_e32 v11, v15, v83
	v_fma_f32 v8, v10, v81, -v12
	v_mul_f32_e32 v10, v13, v74
	v_fma_f32 v12, v16, v83, -v25
	s_wait_loadcnt 0x5
	v_dual_mul_f32 v16, v19, v78 :: v_dual_fmac_f32 v9, v13, v73
	s_wait_loadcnt 0x4
	v_mul_f32_e32 v13, v18, v80
	v_mul_f32_e32 v15, v20, v78
	v_fma_f32 v10, v14, v73, -v10
	v_fma_f32 v16, v20, v77, -v16
	v_mul_f32_e32 v14, v17, v80
	v_fmac_f32_e32 v13, v17, v79
	s_wait_loadcnt 0x2
	v_mul_f32_e32 v17, v24, v86
	v_mul_f32_e32 v20, v23, v86
	v_fmac_f32_e32 v15, v19, v77
	s_wait_loadcnt 0x0
	v_mul_f32_e32 v19, v22, v88
	v_mul_f32_e32 v25, v21, v88
	v_fma_f32 v14, v18, v79, -v14
	v_fmac_f32_e32 v17, v23, v85
	v_fma_f32 v18, v24, v85, -v20
	v_fmac_f32_e32 v19, v21, v87
	v_fma_f32 v20, v22, v87, -v25
	ds_store_2addr_b64 v100, v[0:1], v[2:3] offset0:110 offset1:165
	ds_store_2addr_b64 v6, v[7:8], v[11:12] offset0:92 offset1:147
	;; [unrolled: 1-line block ×4, first 2 shown]
	ds_store_b64 v100, v[19:20] offset:4400
	global_wb scope:SCOPE_SE
	s_wait_dscnt 0x0
	s_wait_kmcnt 0x0
	s_barrier_signal -1
	s_barrier_wait -1
	global_inv scope:SCOPE_SE
	ds_load_2addr_b64 v[0:3], v100 offset1:55
	ds_load_b64 v[26:27], v100 offset:4400
	ds_load_2addr_b64 v[7:10], v100 offset0:110 offset1:165
	ds_load_2addr_b64 v[11:14], v5 offset0:184 offset1:239
	v_mul_lo_u16 v15, v4, 11
	s_wait_dscnt 0x3
	v_add_f32_e32 v24, v0, v2
	s_wait_dscnt 0x0
	v_dual_sub_f32 v32, v7, v13 :: v_dual_sub_f32 v33, v8, v14
	v_add_f32_e32 v28, v26, v2
	v_sub_f32_e32 v2, v2, v26
	s_delay_alu instid0(VALU_DEP_3)
	v_dual_sub_f32 v36, v9, v11 :: v_dual_mul_f32 v53, 0xbf68dda4, v32
	v_mul_f32_e32 v55, 0xbf4178ce, v32
	v_mul_f32_e32 v57, 0x3e903f40, v32
	;; [unrolled: 1-line block ×3, first 2 shown]
	v_dual_mul_f32 v32, 0x3f0a6770, v32 :: v_dual_add_f32 v25, v1, v3
	v_dual_mul_f32 v54, 0xbf4178ce, v33 :: v_dual_add_f32 v29, v27, v3
	v_dual_mul_f32 v56, 0x3e903f40, v33 :: v_dual_sub_f32 v3, v3, v27
	v_dual_mul_f32 v58, 0x3f7d64f0, v33 :: v_dual_add_f32 v31, v14, v8
	s_delay_alu instid0(VALU_DEP_4) | instskip(NEXT) | instid1(VALU_DEP_3)
	v_dual_add_f32 v8, v25, v8 :: v_dual_and_b32 v15, 0xffff, v15
	v_dual_mul_f32 v46, 0xbf68dda4, v3 :: v_dual_mul_f32 v47, 0xbf68dda4, v2
	v_mul_f32_e32 v48, 0xbf7d64f0, v3
	s_delay_alu instid0(VALU_DEP_3)
	v_dual_add_f32 v8, v8, v10 :: v_dual_lshlrev_b32 v101, 3, v15
	v_mul_f32_e32 v52, 0xbf68dda4, v33
	ds_load_2addr_b64 v[15:18], v6 offset0:92 offset1:147
	ds_load_2addr_b64 v[19:22], v5 offset0:74 offset1:129
	v_add_nc_u32_e32 v23, 0xc00, v100
	v_mul_f32_e32 v50, 0xbf4178ce, v3
	v_mul_f32_e32 v64, 0xbf7d64f0, v36
	v_fma_f32 v110, 0x3ed4b147, v28, -v46
	v_dual_fmamk_f32 v111, v29, 0x3ed4b147, v47 :: v_dual_fmac_f32 v46, 0x3ed4b147, v28
	v_fma_f32 v47, 0x3ed4b147, v29, -v47
	v_add_f32_e32 v30, v13, v7
	v_add_f32_e32 v7, v24, v7
	v_mul_f32_e32 v24, 0xbf0a6770, v3
	v_fma_f32 v112, 0xbe11bafb, v28, -v48
	v_fmac_f32_e32 v48, 0xbe11bafb, v28
	v_mul_f32_e32 v33, 0x3f0a6770, v33
	v_fma_f32 v114, 0xbf27a4f4, v28, -v50
	v_dual_fmac_f32 v50, 0xbf27a4f4, v28 :: v_dual_fmamk_f32 v119, v31, 0xbf27a4f4, v55
	v_fma_f32 v55, 0xbf27a4f4, v31, -v55
	v_dual_add_f32 v46, v0, v46 :: v_dual_fmamk_f32 v121, v31, 0xbf75a155, v57
	s_wait_dscnt 0x0
	v_sub_f32_e32 v41, v16, v22
	v_dual_sub_f32 v37, v10, v12 :: v_dual_sub_f32 v44, v17, v19
	v_sub_f32_e32 v45, v18, v20
	v_mul_f32_e32 v49, 0xbf7d64f0, v2
	s_delay_alu instid0(VALU_DEP_4) | instskip(SKIP_1) | instid1(VALU_DEP_4)
	v_mul_f32_e32 v70, 0xbf0a6770, v41
	v_dual_mul_f32 v51, 0xbf4178ce, v2 :: v_dual_sub_f32 v40, v15, v21
	v_mul_f32_e32 v104, 0xbf4178ce, v45
	v_mul_f32_e32 v3, 0xbe903f40, v3
	v_dual_mul_f32 v68, 0xbf4178ce, v41 :: v_dual_add_f32 v35, v12, v10
	v_dual_mul_f32 v60, 0xbf7d64f0, v37 :: v_dual_add_f32 v39, v22, v16
	v_mul_f32_e32 v62, 0x3f68dda4, v37
	v_dual_mul_f32 v63, 0xbf0a6770, v37 :: v_dual_add_f32 v50, v0, v50
	v_dual_mul_f32 v71, 0xbe903f40, v41 :: v_dual_mul_f32 v106, 0xbe903f40, v44
	v_dual_mul_f32 v102, 0xbe903f40, v45 :: v_dual_add_f32 v47, v1, v47
	v_mul_f32_e32 v107, 0x3f0a6770, v44
	v_mul_f32_e32 v108, 0xbf4178ce, v44
	v_fmamk_f32 v115, v29, 0xbf27a4f4, v51
	v_mul_f32_e32 v61, 0x3e903f40, v37
	v_mul_f32_e32 v37, 0xbf4178ce, v37
	v_fma_f32 v57, 0xbf75a155, v31, -v57
	v_mul_f32_e32 v109, 0x3f68dda4, v44
	v_mul_f32_e32 v44, 0xbf7d64f0, v44
	v_dual_fmamk_f32 v113, v29, 0xbe11bafb, v49 :: v_dual_add_f32 v34, v11, v9
	v_dual_add_f32 v43, v20, v18 :: v_dual_mul_f32 v66, 0x3f68dda4, v36
	v_mul_f32_e32 v67, 0xbf0a6770, v36
	v_mul_f32_e32 v98, 0xbe903f40, v40
	v_fma_f32 v116, 0xbf75a155, v28, -v3
	v_fmac_f32_e32 v3, 0xbf75a155, v28
	v_mul_f32_e32 v65, 0x3e903f40, v36
	v_dual_mul_f32 v36, 0xbf4178ce, v36 :: v_dual_add_f32 v7, v7, v9
	v_fma_f32 v9, 0x3f575c64, v28, -v24
	v_add_f32_e32 v48, v0, v48
	v_fmac_f32_e32 v24, 0x3f575c64, v28
	v_fma_f32 v124, 0x3f575c64, v30, -v33
	v_fmac_f32_e32 v33, 0x3f575c64, v30
	v_dual_mul_f32 v25, 0xbf0a6770, v2 :: v_dual_add_f32 v38, v21, v15
	s_delay_alu instid0(VALU_DEP_4)
	v_add_f32_e32 v24, v0, v24
	v_add_f32_e32 v42, v19, v17
	v_mul_f32_e32 v2, 0xbe903f40, v2
	v_dual_mul_f32 v69, 0x3f7d64f0, v41 :: v_dual_mul_f32 v96, 0x3f7d64f0, v40
	v_fmamk_f32 v10, v29, 0x3f575c64, v25
	v_fma_f32 v25, 0x3f575c64, v29, -v25
	v_mul_f32_e32 v41, 0x3f68dda4, v41
	v_dual_mul_f32 v103, 0x3f0a6770, v45 :: v_dual_add_f32 v8, v8, v16
	v_fma_f32 v49, 0xbe11bafb, v29, -v49
	v_fma_f32 v51, 0xbf27a4f4, v29, -v51
	v_fmamk_f32 v28, v29, 0xbf75a155, v2
	v_fma_f32 v2, 0xbf75a155, v29, -v2
	v_fma_f32 v29, 0x3ed4b147, v30, -v52
	v_fmac_f32_e32 v52, 0x3ed4b147, v30
	v_fma_f32 v118, 0xbf27a4f4, v30, -v54
	v_mul_f32_e32 v105, 0x3f68dda4, v45
	v_fmac_f32_e32 v54, 0xbf27a4f4, v30
	v_mul_f32_e32 v45, 0xbf7d64f0, v45
	v_fma_f32 v120, 0xbf75a155, v30, -v56
	v_fmac_f32_e32 v56, 0xbf75a155, v30
	v_fma_f32 v122, 0xbe11bafb, v30, -v58
	v_dual_fmamk_f32 v123, v31, 0xbe11bafb, v59 :: v_dual_fmac_f32 v58, 0xbe11bafb, v30
	v_fma_f32 v59, 0xbe11bafb, v31, -v59
	v_fmamk_f32 v30, v31, 0x3f575c64, v32
	v_fma_f32 v125, 0xbf75a155, v34, -v61
	v_fmac_f32_e32 v61, 0xbf75a155, v34
	v_fma_f32 v126, 0x3ed4b147, v34, -v62
	v_dual_fmac_f32 v62, 0x3ed4b147, v34 :: v_dual_fmamk_f32 v147, v43, 0x3ed4b147, v109
	v_fma_f32 v127, 0x3f575c64, v34, -v63
	v_fmac_f32_e32 v63, 0x3f575c64, v34
	v_fma_f32 v128, 0xbf27a4f4, v34, -v37
	v_dual_fmac_f32 v37, 0xbf27a4f4, v34 :: v_dual_fmamk_f32 v132, v35, 0xbf27a4f4, v36
	v_fma_f32 v133, 0xbe11bafb, v38, -v69
	v_fmac_f32_e32 v69, 0xbe11bafb, v38
	v_fma_f32 v142, 0xbf27a4f4, v42, -v104
	v_dual_fmac_f32 v104, 0xbf27a4f4, v42 :: v_dual_add_f32 v25, v1, v25
	v_dual_add_f32 v10, v1, v10 :: v_dual_fmamk_f32 v117, v31, 0x3ed4b147, v53
	v_mul_f32_e32 v95, 0xbf4178ce, v40
	v_fma_f32 v53, 0x3ed4b147, v31, -v53
	v_mul_f32_e32 v97, 0xbf0a6770, v40
	v_mul_f32_e32 v40, 0x3f68dda4, v40
	v_fma_f32 v31, 0x3f575c64, v31, -v32
	v_fma_f32 v32, 0xbe11bafb, v34, -v60
	v_dual_fmac_f32 v60, 0xbe11bafb, v34 :: v_dual_add_f32 v9, v0, v9
	v_fmamk_f32 v34, v35, 0xbe11bafb, v64
	v_add_f32_e32 v7, v7, v15
	v_fma_f32 v64, 0xbe11bafb, v35, -v64
	v_fmamk_f32 v129, v35, 0xbf75a155, v65
	v_fma_f32 v65, 0xbf75a155, v35, -v65
	v_fmamk_f32 v130, v35, 0x3ed4b147, v66
	v_fma_f32 v66, 0x3ed4b147, v35, -v66
	v_fmamk_f32 v131, v35, 0x3f575c64, v67
	v_fma_f32 v67, 0x3f575c64, v35, -v67
	v_fma_f32 v35, 0xbf27a4f4, v35, -v36
	;; [unrolled: 1-line block ×3, first 2 shown]
	v_fmac_f32_e32 v68, 0xbf27a4f4, v38
	v_fma_f32 v134, 0x3f575c64, v38, -v70
	v_fmac_f32_e32 v70, 0x3f575c64, v38
	v_fma_f32 v135, 0xbf75a155, v38, -v71
	;; [unrolled: 2-line block ×3, first 2 shown]
	v_fmac_f32_e32 v41, 0x3ed4b147, v38
	v_dual_fmamk_f32 v38, v39, 0xbf27a4f4, v95 :: v_dual_add_f32 v49, v1, v49
	v_fma_f32 v95, 0xbf27a4f4, v39, -v95
	v_fmamk_f32 v137, v39, 0xbe11bafb, v96
	v_fma_f32 v96, 0xbe11bafb, v39, -v96
	v_fmamk_f32 v138, v39, 0x3f575c64, v97
	v_fma_f32 v97, 0x3f575c64, v39, -v97
	v_fmamk_f32 v139, v39, 0xbf75a155, v98
	v_fma_f32 v98, 0xbf75a155, v39, -v98
	v_fmamk_f32 v140, v39, 0x3ed4b147, v40
	v_fma_f32 v39, 0x3ed4b147, v39, -v40
	v_fma_f32 v40, 0xbf75a155, v42, -v102
	v_fmac_f32_e32 v102, 0xbf75a155, v42
	v_fma_f32 v141, 0x3f575c64, v42, -v103
	v_fmac_f32_e32 v103, 0x3f575c64, v42
	;; [unrolled: 2-line block ×3, first 2 shown]
	v_fma_f32 v144, 0xbe11bafb, v42, -v45
	v_dual_fmac_f32 v45, 0xbe11bafb, v42 :: v_dual_fmamk_f32 v148, v43, 0xbe11bafb, v44
	v_fmamk_f32 v42, v43, 0xbf75a155, v106
	v_fma_f32 v106, 0xbf75a155, v43, -v106
	v_fmamk_f32 v145, v43, 0x3f575c64, v107
	v_fma_f32 v107, 0x3f575c64, v43, -v107
	v_dual_fmamk_f32 v146, v43, 0xbf27a4f4, v108 :: v_dual_add_f32 v51, v1, v51
	v_fma_f32 v108, 0xbf27a4f4, v43, -v108
	v_fma_f32 v109, 0x3ed4b147, v43, -v109
	v_fma_f32 v43, 0xbe11bafb, v43, -v44
	v_add_f32_e32 v44, v0, v110
	v_dual_add_f32 v110, v1, v111 :: v_dual_add_f32 v111, v0, v112
	v_dual_add_f32 v112, v1, v113 :: v_dual_add_f32 v113, v0, v114
	v_add_f32_e32 v114, v1, v115
	v_add_f32_e32 v15, v1, v28
	v_dual_add_f32 v1, v1, v2 :: v_dual_add_f32 v2, v7, v17
	v_add_f32_e32 v115, v0, v116
	v_add_f32_e32 v0, v0, v3
	v_dual_add_f32 v16, v118, v44 :: v_dual_add_f32 v3, v8, v18
	s_delay_alu instid0(VALU_DEP_4) | instskip(SKIP_1) | instid1(VALU_DEP_4)
	v_add_f32_e32 v2, v2, v19
	v_add_f32_e32 v8, v117, v10
	;; [unrolled: 1-line block ×3, first 2 shown]
	s_delay_alu instid0(VALU_DEP_4)
	v_add_f32_e32 v16, v125, v16
	v_add_f32_e32 v10, v53, v25
	;; [unrolled: 1-line block ×5, first 2 shown]
	v_dual_add_f32 v9, v52, v24 :: v_dual_add_f32 v24, v55, v47
	s_delay_alu instid0(VALU_DEP_4)
	v_add_f32_e32 v18, v61, v18
	v_dual_add_f32 v44, v57, v49 :: v_dual_add_f32 v47, v123, v114
	v_add_f32_e32 v0, v37, v0
	v_add_f32_e32 v29, v56, v48
	v_dual_add_f32 v49, v59, v51 :: v_dual_add_f32 v2, v2, v21
	v_add_f32_e32 v25, v120, v111
	;; [unrolled: 3-line block ×3, first 2 shown]
	v_dual_add_f32 v10, v64, v10 :: v_dual_add_f32 v15, v30, v15
	v_add_f32_e32 v19, v65, v24
	v_dual_add_f32 v24, v130, v28 :: v_dual_add_f32 v7, v32, v7
	v_add_f32_e32 v16, v133, v16
	v_add_f32_e32 v28, v66, v44
	;; [unrolled: 1-line block ×5, first 2 shown]
	v_dual_add_f32 v1, v31, v1 :: v_dual_add_f32 v8, v38, v8
	v_add_f32_e32 v9, v60, v9
	v_dual_add_f32 v25, v62, v29 :: v_dual_add_f32 v28, v97, v28
	v_add_f32_e32 v46, v122, v113
	v_add_f32_e32 v48, v58, v50
	;; [unrolled: 1-line block ×3, first 2 shown]
	v_dual_add_f32 v7, v36, v7 :: v_dual_add_f32 v10, v95, v10
	v_dual_add_f32 v20, v134, v20 :: v_dual_add_f32 v9, v68, v9
	v_add_f32_e32 v3, v3, v22
	v_add_f32_e32 v21, v138, v24
	v_dual_add_f32 v22, v70, v25 :: v_dual_add_f32 v19, v96, v19
	v_dual_add_f32 v37, v2, v11 :: v_dual_add_f32 v2, v141, v16
	v_add_f32_e32 v1, v35, v1
	v_dual_add_f32 v29, v127, v46 :: v_dual_add_f32 v32, v98, v32
	v_dual_add_f32 v35, v41, v0 :: v_dual_add_f32 v0, v40, v7
	s_delay_alu instid0(VALU_DEP_3)
	v_dual_add_f32 v33, v128, v50 :: v_dual_add_f32 v36, v39, v1
	v_add_f32_e32 v1, v42, v8
	v_add_f32_e32 v25, v106, v10
	;; [unrolled: 1-line block ×4, first 2 shown]
	v_dual_add_f32 v24, v102, v9 :: v_dual_add_f32 v15, v132, v15
	v_dual_add_f32 v12, v3, v12 :: v_dual_add_f32 v17, v129, v17
	v_add_f32_e32 v30, v139, v30
	s_delay_alu instid0(VALU_DEP_3) | instskip(SKIP_2) | instid1(VALU_DEP_4)
	v_dual_add_f32 v31, v63, v48 :: v_dual_add_f32 v34, v140, v15
	v_add_f32_e32 v29, v135, v29
	v_add_f32_e32 v33, v136, v33
	v_dual_add_f32 v17, v137, v17 :: v_dual_add_f32 v16, v147, v30
	s_delay_alu instid0(VALU_DEP_4)
	v_add_f32_e32 v31, v71, v31
	v_add_f32_e32 v11, v104, v22
	v_add_f32_e32 v22, v12, v14
	v_dual_add_f32 v12, v108, v28 :: v_dual_add_f32 v21, v37, v13
	v_add_f32_e32 v7, v103, v18
	v_add_f32_e32 v9, v142, v20
	v_dual_add_f32 v18, v109, v32 :: v_dual_add_f32 v15, v143, v29
	v_add_f32_e32 v20, v148, v34
	v_dual_add_f32 v14, v43, v36 :: v_dual_add_f32 v19, v144, v33
	v_add_f32_e32 v3, v145, v17
	v_add_f32_e32 v17, v105, v31
	;; [unrolled: 1-line block ×5, first 2 shown]
	global_wb scope:SCOPE_SE
	s_barrier_signal -1
	s_barrier_wait -1
	global_inv scope:SCOPE_SE
	ds_store_2addr_b64 v101, v[15:16], v[19:20] offset0:4 offset1:5
	ds_store_2addr_b64 v101, v[13:14], v[17:18] offset0:6 offset1:7
	;; [unrolled: 1-line block ×3, first 2 shown]
	ds_store_b64 v101, v[24:25] offset:80
	ds_store_2addr_b64 v101, v[21:22], v[0:1] offset1:1
	ds_store_2addr_b64 v101, v[2:3], v[9:10] offset0:2 offset1:3
	global_wb scope:SCOPE_SE
	s_wait_dscnt 0x0
	s_barrier_signal -1
	s_barrier_wait -1
	global_inv scope:SCOPE_SE
	ds_load_2addr_b64 v[28:31], v100 offset1:55
	ds_load_2addr_b64 v[48:51], v100 offset0:121 offset1:176
	ds_load_2addr_b64 v[44:47], v6 offset0:114 offset1:169
	;; [unrolled: 1-line block ×4, first 2 shown]
	v_add_co_u32 v97, s2, s8, v100
	s_wait_alu 0xf1ff
	v_add_co_ci_u32_e64 v98, null, s9, 0, s2
                                        ; implicit-def: $vgpr32
                                        ; implicit-def: $vgpr52
	s_and_saveexec_b32 s2, vcc_lo
	s_cbranch_execz .LBB0_3
; %bb.2:
	ds_load_2addr_b64 v[24:27], v100 offset0:110 offset1:231
	ds_load_2addr_b64 v[32:35], v5 offset0:96 offset1:217
	ds_load_b64 v[52:53], v100 offset:4752
.LBB0_3:
	s_wait_alu 0xfffe
	s_or_b32 exec_lo, exec_lo, s2
	v_and_b32_e32 v0, 0xff, v99
	v_add_nc_u16 v1, v99, 55
	v_add_nc_u16 v4, v99, 0x6e
	s_delay_alu instid0(VALU_DEP_3) | instskip(NEXT) | instid1(VALU_DEP_3)
	v_mul_lo_u16 v0, 0x75, v0
	v_and_b32_e32 v3, 0xff, v1
	s_delay_alu instid0(VALU_DEP_3) | instskip(NEXT) | instid1(VALU_DEP_3)
	v_and_b32_e32 v5, 0xff, v4
	v_lshrrev_b16 v0, 8, v0
	s_delay_alu instid0(VALU_DEP_3) | instskip(NEXT) | instid1(VALU_DEP_3)
	v_mul_lo_u16 v3, 0x75, v3
	v_mul_lo_u16 v5, 0x75, v5
	s_delay_alu instid0(VALU_DEP_3) | instskip(NEXT) | instid1(VALU_DEP_3)
	v_sub_nc_u16 v2, v99, v0
	v_lshrrev_b16 v3, 8, v3
	s_delay_alu instid0(VALU_DEP_2) | instskip(NEXT) | instid1(VALU_DEP_1)
	v_lshrrev_b16 v2, 1, v2
	v_and_b32_e32 v2, 0x7f, v2
	s_delay_alu instid0(VALU_DEP_1) | instskip(NEXT) | instid1(VALU_DEP_4)
	v_add_nc_u16 v0, v2, v0
	v_sub_nc_u16 v2, v1, v3
	s_delay_alu instid0(VALU_DEP_2) | instskip(NEXT) | instid1(VALU_DEP_2)
	v_lshrrev_b16 v54, 3, v0
	v_lshrrev_b16 v0, 1, v2
	;; [unrolled: 1-line block ×3, first 2 shown]
	s_delay_alu instid0(VALU_DEP_3) | instskip(NEXT) | instid1(VALU_DEP_3)
	v_mul_lo_u16 v5, v54, 11
	v_and_b32_e32 v0, 0x7f, v0
	s_delay_alu instid0(VALU_DEP_3) | instskip(NEXT) | instid1(VALU_DEP_3)
	v_sub_nc_u16 v6, v4, v2
	v_sub_nc_u16 v5, v99, v5
	s_delay_alu instid0(VALU_DEP_3) | instskip(NEXT) | instid1(VALU_DEP_3)
	v_add_nc_u16 v0, v0, v3
	v_lshrrev_b16 v3, 1, v6
	s_delay_alu instid0(VALU_DEP_3) | instskip(NEXT) | instid1(VALU_DEP_3)
	v_and_b32_e32 v55, 0xff, v5
	v_lshrrev_b16 v56, 3, v0
	s_delay_alu instid0(VALU_DEP_3) | instskip(NEXT) | instid1(VALU_DEP_3)
	v_and_b32_e32 v0, 0x7f, v3
	v_lshlrev_b32_e32 v3, 5, v55
	s_delay_alu instid0(VALU_DEP_3) | instskip(SKIP_4) | instid1(VALU_DEP_1)
	v_mul_lo_u16 v5, v56, 11
	s_clause 0x1
	global_load_b128 v[20:23], v3, s[10:11]
	global_load_b128 v[12:15], v3, s[10:11] offset:16
	v_sub_nc_u16 v1, v1, v5
	v_and_b32_e32 v57, 0xff, v1
	s_delay_alu instid0(VALU_DEP_1)
	v_lshlrev_b32_e32 v1, 5, v57
	s_clause 0x1
	global_load_b128 v[16:19], v1, s[10:11]
	global_load_b128 v[8:11], v1, s[10:11] offset:16
	s_wait_loadcnt_dscnt 0x201
	v_dual_mul_f32 v59, v40, v13 :: v_dual_and_b32 v54, 0xffff, v54
	s_wait_dscnt 0x0
	v_mul_f32_e32 v60, v37, v15
	v_dual_mul_f32 v58, v41, v13 :: v_dual_mul_f32 v61, v36, v15
	s_delay_alu instid0(VALU_DEP_3) | instskip(SKIP_1) | instid1(VALU_DEP_3)
	v_fmac_f32_e32 v59, v41, v12
	v_mul_u32_u24_e32 v54, 55, v54
	v_dual_fmac_f32 v61, v37, v14 :: v_dual_and_b32 v56, 0xffff, v56
	s_delay_alu instid0(VALU_DEP_2) | instskip(SKIP_1) | instid1(VALU_DEP_3)
	v_add_lshl_u32 v103, v54, v55, 3
	v_mul_f32_e32 v55, v48, v21
	v_mul_u32_u24_e32 v56, 55, v56
	v_mul_f32_e32 v54, v49, v21
	v_sub_f32_e32 v107, v61, v59
	s_wait_loadcnt 0x1
	v_mul_f32_e32 v37, v47, v19
	v_fmac_f32_e32 v55, v49, v20
	v_add_nc_u16 v0, v0, v2
	v_add_lshl_u32 v102, v56, v57, 3
	v_mul_f32_e32 v57, v44, v23
	v_mul_f32_e32 v56, v45, v23
	v_fma_f32 v48, v48, v20, -v54
	v_lshrrev_b16 v0, 3, v0
	v_fma_f32 v49, v36, v14, -v60
	v_dual_fmac_f32 v57, v45, v22 :: v_dual_mul_f32 v54, v50, v17
	s_wait_loadcnt 0x0
	v_dual_mul_f32 v60, v42, v9 :: v_dual_mul_f32 v41, v39, v11
	v_mul_lo_u16 v0, v0, 11
	v_fma_f32 v44, v44, v22, -v56
	v_fma_f32 v45, v40, v12, -v58
	v_dual_mul_f32 v36, v51, v17 :: v_dual_mul_f32 v63, v38, v11
	s_delay_alu instid0(VALU_DEP_4)
	v_sub_nc_u16 v62, v4, v0
	v_mul_f32_e32 v56, v46, v19
	v_fmac_f32_e32 v54, v51, v16
	v_fma_f32 v51, v46, v18, -v37
	v_dual_add_f32 v64, v28, v48 :: v_dual_sub_f32 v95, v45, v49
	v_lshlrev_b16 v0, 2, v62
	v_fma_f32 v50, v50, v16, -v36
	v_fma_f32 v38, v38, v10, -v41
	v_dual_add_f32 v65, v44, v45 :: v_dual_add_f32 v96, v29, v55
	s_delay_alu instid0(VALU_DEP_4) | instskip(SKIP_3) | instid1(VALU_DEP_4)
	v_and_b32_e32 v0, 0xfc, v0
	v_dual_sub_f32 v66, v55, v61 :: v_dual_sub_f32 v71, v44, v48
	v_sub_f32_e32 v68, v48, v44
	v_add_f32_e32 v70, v48, v49
	v_lshlrev_b32_e32 v0, 3, v0
	s_clause 0x1
	global_load_b128 v[4:7], v0, s[10:11]
	global_load_b128 v[0:3], v0, s[10:11] offset:16
	v_mul_f32_e32 v40, v43, v9
	v_fmac_f32_e32 v60, v43, v8
	v_fmac_f32_e32 v56, v47, v18
	v_dual_fmac_f32 v63, v39, v10 :: v_dual_add_f32 v104, v57, v59
	v_sub_f32_e32 v105, v44, v45
	v_sub_f32_e32 v106, v55, v57
	global_wb scope:SCOPE_SE
	s_wait_loadcnt 0x0
	s_barrier_signal -1
	s_barrier_wait -1
	global_inv scope:SCOPE_SE
	v_sub_f32_e32 v69, v49, v45
	v_sub_f32_e32 v67, v57, v59
	v_dual_mul_f32 v39, v27, v5 :: v_dual_mul_f32 v58, v53, v3
	v_mul_f32_e32 v37, v34, v1
	v_mul_f32_e32 v41, v26, v5
	;; [unrolled: 1-line block ×3, first 2 shown]
	v_fma_f32 v47, v42, v8, -v40
	v_mul_f32_e32 v40, v32, v7
	v_mul_f32_e32 v46, v35, v1
	v_dual_mul_f32 v36, v52, v3 :: v_dual_sub_f32 v109, v59, v61
	v_fmac_f32_e32 v37, v35, v0
	v_dual_add_f32 v35, v64, v44 :: v_dual_add_f32 v108, v55, v61
	v_dual_sub_f32 v55, v57, v55 :: v_dual_sub_f32 v48, v48, v49
	v_fmac_f32_e32 v41, v27, v4
	v_fma_f32 v42, v26, v4, -v39
	v_fma_f32 v32, v32, v6, -v43
	v_fmac_f32_e32 v40, v33, v6
	v_fma_f32 v27, v34, v0, -v46
	v_fma_f32 v26, v52, v2, -v58
	v_fmac_f32_e32 v36, v53, v2
	v_fma_f32 v33, -0.5, v65, v28
	v_dual_add_f32 v39, v68, v69 :: v_dual_add_f32 v64, v71, v95
	v_fma_f32 v28, -0.5, v70, v28
	v_dual_add_f32 v44, v96, v57 :: v_dual_add_f32 v53, v51, v47
	v_fma_f32 v34, -0.5, v104, v29
	v_add_f32_e32 v65, v106, v107
	v_fma_f32 v29, -0.5, v108, v29
	v_dual_add_f32 v68, v55, v109 :: v_dual_sub_f32 v69, v54, v63
	v_dual_add_f32 v52, v30, v50 :: v_dual_sub_f32 v107, v51, v47
	v_dual_sub_f32 v70, v56, v60 :: v_dual_sub_f32 v55, v50, v51
	v_dual_sub_f32 v57, v38, v47 :: v_dual_add_f32 v96, v31, v54
	v_dual_add_f32 v58, v50, v38 :: v_dual_add_f32 v35, v35, v45
	v_dual_sub_f32 v71, v51, v50 :: v_dual_add_f32 v104, v56, v60
	v_sub_f32_e32 v95, v47, v38
	v_dual_sub_f32 v106, v50, v38 :: v_dual_fmamk_f32 v45, v67, 0xbf737871, v28
	v_sub_f32_e32 v50, v54, v56
	v_dual_sub_f32 v108, v63, v60 :: v_dual_add_f32 v109, v54, v63
	v_dual_sub_f32 v54, v56, v54 :: v_dual_fmamk_f32 v43, v66, 0x3f737871, v33
	v_dual_sub_f32 v110, v60, v63 :: v_dual_fmac_f32 v33, 0xbf737871, v66
	v_dual_fmac_f32 v28, 0x3f737871, v67 :: v_dual_add_f32 v111, v55, v57
	v_add_f32_e32 v59, v44, v59
	v_fmamk_f32 v44, v48, 0xbf737871, v34
	v_dual_fmamk_f32 v46, v105, 0x3f737871, v29 :: v_dual_add_f32 v51, v52, v51
	v_fma_f32 v52, -0.5, v53, v30
	v_add_f32_e32 v71, v71, v95
	v_add_f32_e32 v57, v96, v56
	v_fma_f32 v53, -0.5, v104, v31
	v_add_f32_e32 v104, v50, v108
	v_dual_add_f32 v108, v54, v110 :: v_dual_fmac_f32 v31, -0.5, v109
	v_add_f32_e32 v50, v32, v27
	v_dual_sub_f32 v96, v42, v32 :: v_dual_sub_f32 v115, v27, v26
	v_dual_sub_f32 v112, v26, v27 :: v_dual_sub_f32 v119, v41, v40
	v_dual_add_f32 v113, v42, v26 :: v_dual_add_f32 v116, v40, v37
	v_dual_sub_f32 v114, v32, v42 :: v_dual_add_f32 v121, v41, v36
	v_fmac_f32_e32 v34, 0x3f737871, v48
	v_fmac_f32_e32 v29, 0xbf737871, v105
	v_fma_f32 v30, -0.5, v58, v30
	v_dual_sub_f32 v109, v41, v36 :: v_dual_sub_f32 v110, v40, v37
	v_dual_sub_f32 v117, v42, v26 :: v_dual_sub_f32 v118, v32, v27
	v_dual_sub_f32 v122, v40, v41 :: v_dual_fmac_f32 v43, 0x3f167918, v67
	v_dual_add_f32 v54, v35, v49 :: v_dual_fmac_f32 v33, 0xbf167918, v67
	v_dual_fmac_f32 v45, 0x3f167918, v66 :: v_dual_fmac_f32 v34, 0x3f167918, v105
	v_dual_fmac_f32 v28, 0xbf167918, v66 :: v_dual_add_f32 v55, v59, v61
	v_dual_fmac_f32 v44, 0xbf167918, v105 :: v_dual_add_f32 v35, v51, v47
	v_fmamk_f32 v56, v69, 0x3f737871, v52
	v_dual_fmac_f32 v52, 0xbf737871, v69 :: v_dual_add_f32 v47, v57, v60
	v_dual_fmamk_f32 v57, v106, 0xbf737871, v53 :: v_dual_add_f32 v66, v96, v112
	v_fma_f32 v95, -0.5, v50, v24
	v_fma_f32 v50, -0.5, v113, v24
	;; [unrolled: 1-line block ×4, first 2 shown]
	v_dual_sub_f32 v120, v36, v37 :: v_dual_sub_f32 v123, v37, v36
	v_dual_fmac_f32 v46, 0xbf167918, v48 :: v_dual_add_f32 v67, v114, v115
	v_fmac_f32_e32 v29, 0x3f167918, v48
	v_fmamk_f32 v58, v70, 0xbf737871, v30
	v_dual_fmac_f32 v30, 0x3f737871, v70 :: v_dual_fmamk_f32 v59, v107, 0x3f737871, v31
	v_fmac_f32_e32 v53, 0x3f737871, v106
	v_fmac_f32_e32 v31, 0xbf737871, v107
	v_dual_fmac_f32 v43, 0x3e9e377a, v39 :: v_dual_fmac_f32 v28, 0x3e9e377a, v64
	v_dual_fmac_f32 v33, 0x3e9e377a, v39 :: v_dual_fmac_f32 v34, 0x3e9e377a, v65
	v_dual_fmac_f32 v45, 0x3e9e377a, v64 :: v_dual_add_f32 v60, v35, v38
	v_fmamk_f32 v38, v109, 0x3f737871, v95
	v_dual_fmac_f32 v95, 0xbf737871, v109 :: v_dual_fmamk_f32 v48, v110, 0xbf737871, v50
	v_dual_fmac_f32 v50, 0x3f737871, v110 :: v_dual_fmamk_f32 v49, v118, 0x3f737871, v51
	v_fmamk_f32 v39, v117, 0xbf737871, v96
	v_fmac_f32_e32 v96, 0x3f737871, v117
	v_fmac_f32_e32 v51, 0xbf737871, v118
	v_dual_add_f32 v105, v119, v120 :: v_dual_fmac_f32 v44, 0x3e9e377a, v65
	v_add_f32_e32 v112, v122, v123
	v_dual_fmac_f32 v56, 0x3f167918, v70 :: v_dual_fmac_f32 v53, 0x3f167918, v107
	v_dual_fmac_f32 v52, 0xbf167918, v70 :: v_dual_fmac_f32 v57, 0xbf167918, v107
	;; [unrolled: 1-line block ×5, first 2 shown]
	v_fmac_f32_e32 v48, 0x3f167918, v109
	v_fmac_f32_e32 v39, 0xbf167918, v118
	;; [unrolled: 1-line block ×4, first 2 shown]
	v_dual_fmac_f32 v30, 0xbf167918, v69 :: v_dual_fmac_f32 v59, 0xbf167918, v106
	v_dual_fmac_f32 v52, 0x3e9e377a, v111 :: v_dual_fmac_f32 v57, 0x3e9e377a, v104
	;; [unrolled: 1-line block ×7, first 2 shown]
	v_fmac_f32_e32 v51, 0x3e9e377a, v112
	v_and_b32_e32 v104, 0xff, v62
	v_dual_fmac_f32 v46, 0x3e9e377a, v68 :: v_dual_add_f32 v61, v47, v63
	v_dual_fmac_f32 v29, 0x3e9e377a, v68 :: v_dual_fmac_f32 v56, 0x3e9e377a, v111
	v_dual_fmac_f32 v30, 0x3e9e377a, v71 :: v_dual_fmac_f32 v59, 0x3e9e377a, v108
	ds_store_2addr_b64 v103, v[54:55], v[43:44] offset1:11
	ds_store_2addr_b64 v103, v[45:46], v[28:29] offset0:22 offset1:33
	ds_store_b64 v103, v[33:34] offset:352
	ds_store_2addr_b64 v102, v[60:61], v[56:57] offset1:11
	ds_store_2addr_b64 v102, v[58:59], v[30:31] offset0:22 offset1:33
	ds_store_b64 v102, v[52:53] offset:352
	s_and_saveexec_b32 s2, vcc_lo
	s_cbranch_execz .LBB0_5
; %bb.4:
	v_dual_add_f32 v25, v25, v41 :: v_dual_add_f32 v24, v24, v42
	v_lshlrev_b32_e32 v28, 3, v104
	s_delay_alu instid0(VALU_DEP_2) | instskip(NEXT) | instid1(VALU_DEP_1)
	v_add_f32_e32 v24, v24, v32
	v_dual_add_f32 v25, v25, v40 :: v_dual_add_f32 v24, v24, v27
	s_delay_alu instid0(VALU_DEP_1) | instskip(NEXT) | instid1(VALU_DEP_2)
	v_add_f32_e32 v25, v25, v37
	v_dual_add_f32 v24, v24, v26 :: v_dual_add_nc_u32 v27, 0x1000, v28
	s_delay_alu instid0(VALU_DEP_2)
	v_add_f32_e32 v25, v25, v36
	ds_store_2addr_b64 v27, v[48:49], v[50:51] offset0:60 offset1:71
	ds_store_2addr_b64 v27, v[24:25], v[38:39] offset0:38 offset1:49
	ds_store_b64 v28, v[95:96] offset:4752
.LBB0_5:
	s_wait_alu 0xfffe
	s_or_b32 exec_lo, exec_lo, s2
	v_mad_co_u64_u32 v[32:33], null, 0x50, v99, s[10:11]
	global_wb scope:SCOPE_SE
	s_wait_dscnt 0x0
	s_barrier_signal -1
	s_barrier_wait -1
	global_inv scope:SCOPE_SE
	s_add_nc_u64 s[2:3], s[8:9], 0x12e8
	s_clause 0x4
	global_load_b128 v[44:47], v[32:33], off offset:352
	global_load_b128 v[40:43], v[32:33], off offset:368
	;; [unrolled: 1-line block ×5, first 2 shown]
	ds_load_2addr_b64 v[52:55], v100 offset1:55
	v_add_nc_u32_e32 v106, 0x400, v100
	v_add_nc_u32_e32 v105, 0x800, v100
	ds_load_2addr_b64 v[68:71], v100 offset0:110 offset1:165
	s_wait_loadcnt_dscnt 0x401
	v_mul_f32_e32 v108, v54, v45
	v_mul_f32_e32 v107, v55, v45
	ds_load_2addr_b64 v[64:67], v106 offset0:92 offset1:147
	ds_load_2addr_b64 v[60:63], v105 offset0:74 offset1:129
	;; [unrolled: 1-line block ×3, first 2 shown]
	ds_load_b64 v[36:37], v100 offset:4400
	s_wait_loadcnt_dscnt 0x304
	v_dual_mul_f32 v109, v69, v47 :: v_dual_mul_f32 v112, v70, v41
	v_dual_mul_f32 v110, v68, v47 :: v_dual_mul_f32 v111, v71, v41
	v_fma_f32 v54, v54, v44, -v107
	v_fmac_f32_e32 v108, v55, v44
	s_delay_alu instid0(VALU_DEP_4) | instskip(NEXT) | instid1(VALU_DEP_4)
	v_fma_f32 v55, v68, v46, -v109
	v_fma_f32 v68, v70, v40, -v111
	s_wait_loadcnt_dscnt 0x203
	v_dual_mul_f32 v113, v65, v43 :: v_dual_mul_f32 v116, v66, v29
	s_wait_loadcnt_dscnt 0x102
	v_dual_mul_f32 v118, v60, v31 :: v_dual_mul_f32 v119, v63, v25
	s_wait_loadcnt_dscnt 0x1
	v_dual_mul_f32 v121, v57, v27 :: v_dual_mul_f32 v124, v58, v33
	s_wait_dscnt 0x0
	v_mul_f32_e32 v125, v37, v35
	v_mul_f32_e32 v126, v36, v35
	v_dual_mul_f32 v114, v64, v43 :: v_dual_mul_f32 v115, v67, v29
	v_dual_mul_f32 v117, v61, v31 :: v_dual_mul_f32 v120, v62, v25
	;; [unrolled: 1-line block ×3, first 2 shown]
	v_fma_f32 v64, v64, v42, -v113
	v_fma_f32 v56, v56, v26, -v121
	v_fmac_f32_e32 v118, v61, v30
	v_fma_f32 v61, v62, v24, -v119
	v_fmac_f32_e32 v126, v37, v34
	v_fmac_f32_e32 v112, v71, v40
	;; [unrolled: 1-line block ×3, first 2 shown]
	s_delay_alu instid0(VALU_DEP_4) | instskip(NEXT) | instid1(VALU_DEP_4)
	v_dual_fmac_f32 v124, v59, v32 :: v_dual_add_f32 v111, v64, v61
	v_dual_sub_f32 v59, v108, v126 :: v_dual_fmac_f32 v116, v67, v28
	s_delay_alu instid0(VALU_DEP_3) | instskip(SKIP_4) | instid1(VALU_DEP_4)
	v_add_f32_e32 v107, v112, v122
	v_fma_f32 v67, v36, v34, -v125
	v_fmac_f32_e32 v110, v69, v46
	v_dual_fmac_f32 v120, v63, v24 :: v_dual_sub_f32 v109, v112, v122
	v_add_f32_e32 v37, v53, v108
	v_dual_add_f32 v57, v54, v67 :: v_dual_fmac_f32 v114, v65, v42
	v_fma_f32 v65, v66, v28, -v115
	v_fma_f32 v66, v58, v32, -v123
	v_sub_f32_e32 v115, v64, v61
	v_dual_add_f32 v63, v110, v124 :: v_dual_add_f32 v36, v52, v54
	s_delay_alu instid0(VALU_DEP_3) | instskip(SKIP_4) | instid1(VALU_DEP_4)
	v_dual_sub_f32 v54, v54, v67 :: v_dual_sub_f32 v69, v55, v66
	v_fma_f32 v60, v60, v30, -v117
	v_dual_add_f32 v62, v55, v66 :: v_dual_add_f32 v71, v68, v56
	v_dual_sub_f32 v70, v110, v124 :: v_dual_sub_f32 v123, v116, v118
	v_dual_add_f32 v113, v114, v120 :: v_dual_add_f32 v58, v108, v126
	v_add_f32_e32 v119, v65, v60
	v_dual_sub_f32 v108, v68, v56 :: v_dual_add_f32 v37, v37, v110
	v_dual_sub_f32 v117, v114, v120 :: v_dual_add_f32 v36, v36, v55
	v_mul_f32_e32 v133, 0xbf68dda4, v70
	v_dual_mul_f32 v55, 0xbf0a6770, v59 :: v_dual_mul_f32 v110, 0xbf0a6770, v54
	v_dual_mul_f32 v127, 0xbf68dda4, v59 :: v_dual_mul_f32 v128, 0xbf68dda4, v54
	v_sub_f32_e32 v121, v65, v60
	v_dual_add_f32 v125, v116, v118 :: v_dual_mul_f32 v134, 0xbf68dda4, v69
	v_dual_mul_f32 v129, 0xbf7d64f0, v59 :: v_dual_mul_f32 v130, 0xbf7d64f0, v54
	v_dual_mul_f32 v131, 0xbf4178ce, v59 :: v_dual_mul_f32 v132, 0xbf4178ce, v54
	;; [unrolled: 1-line block ×8, first 2 shown]
	v_dual_mul_f32 v117, 0x3f68dda4, v117 :: v_dual_add_f32 v36, v36, v68
	v_dual_add_f32 v37, v37, v112 :: v_dual_fmamk_f32 v112, v58, 0x3f575c64, v110
	v_fma_f32 v68, 0x3f575c64, v57, -v55
	v_fma_f32 v110, 0x3f575c64, v58, -v110
	;; [unrolled: 1-line block ×3, first 2 shown]
	v_dual_fmamk_f32 v166, v58, 0x3ed4b147, v128 :: v_dual_fmac_f32 v127, 0x3ed4b147, v57
	v_dual_mul_f32 v137, 0x3e903f40, v70 :: v_dual_mul_f32 v138, 0x3e903f40, v69
	v_dual_mul_f32 v139, 0x3f7d64f0, v70 :: v_dual_mul_f32 v140, 0x3f7d64f0, v69
	v_dual_mul_f32 v70, 0x3f0a6770, v70 :: v_dual_mul_f32 v69, 0x3f0a6770, v69
	v_dual_mul_f32 v141, 0xbf7d64f0, v109 :: v_dual_mul_f32 v142, 0xbf7d64f0, v108
	v_dual_mul_f32 v143, 0x3e903f40, v109 :: v_dual_mul_f32 v144, 0x3e903f40, v108
	v_dual_mul_f32 v145, 0x3f68dda4, v109 :: v_dual_mul_f32 v146, 0x3f68dda4, v108
	v_dual_mul_f32 v147, 0xbf0a6770, v109 :: v_dual_mul_f32 v148, 0xbf0a6770, v108
	v_dual_mul_f32 v109, 0xbf4178ce, v109 :: v_dual_mul_f32 v108, 0xbf4178ce, v108
	v_dual_mul_f32 v115, 0x3f68dda4, v115 :: v_dual_mul_f32 v164, 0x3f68dda4, v121
	v_dual_mul_f32 v157, 0xbe903f40, v123 :: v_dual_mul_f32 v158, 0xbe903f40, v121
	v_dual_mul_f32 v159, 0x3f0a6770, v123 :: v_dual_mul_f32 v162, 0x3f0a6770, v121
	v_dual_mul_f32 v160, 0xbf4178ce, v123 :: v_dual_mul_f32 v163, 0xbf4178ce, v121
	v_dual_mul_f32 v161, 0x3f68dda4, v123 :: v_dual_add_f32 v68, v52, v68
	v_dual_mul_f32 v123, 0xbf7d64f0, v123 :: v_dual_add_f32 v112, v53, v112
	;; [unrolled: 1-line block ×3, first 2 shown]
	v_fmac_f32_e32 v55, 0x3f575c64, v57
	v_fma_f32 v128, 0x3ed4b147, v58, -v128
	v_fma_f32 v167, 0xbe11bafb, v57, -v129
	v_dual_fmamk_f32 v168, v58, 0xbe11bafb, v130 :: v_dual_fmac_f32 v129, 0xbe11bafb, v57
	v_fma_f32 v130, 0xbe11bafb, v58, -v130
	v_fma_f32 v169, 0xbf27a4f4, v57, -v131
	v_dual_fmamk_f32 v170, v58, 0xbf27a4f4, v132 :: v_dual_fmac_f32 v131, 0xbf27a4f4, v57
	;; [unrolled: 3-line block ×5, first 2 shown]
	v_add_f32_e32 v127, v52, v127
	v_fma_f32 v136, 0xbf27a4f4, v63, -v136
	v_fma_f32 v175, 0xbf75a155, v62, -v137
	v_dual_fmamk_f32 v176, v63, 0xbf75a155, v138 :: v_dual_fmac_f32 v137, 0xbf75a155, v62
	v_fma_f32 v138, 0xbf75a155, v63, -v138
	v_fma_f32 v177, 0xbe11bafb, v62, -v139
	v_dual_fmamk_f32 v178, v63, 0xbe11bafb, v140 :: v_dual_fmac_f32 v139, 0xbe11bafb, v62
	v_fma_f32 v140, 0xbe11bafb, v63, -v140
	v_fma_f32 v179, 0x3f575c64, v62, -v70
	v_fmac_f32_e32 v70, 0x3f575c64, v62
	v_dual_fmamk_f32 v180, v63, 0x3f575c64, v69 :: v_dual_add_f32 v55, v52, v55
	v_fma_f32 v62, 0x3f575c64, v63, -v69
	v_fma_f32 v63, 0xbe11bafb, v71, -v141
	v_dual_fmamk_f32 v69, v107, 0xbe11bafb, v142 :: v_dual_add_f32 v128, v53, v128
	v_dual_fmac_f32 v141, 0xbe11bafb, v71 :: v_dual_fmamk_f32 v190, v113, 0xbe11bafb, v152
	v_fma_f32 v142, 0xbe11bafb, v107, -v142
	v_fma_f32 v181, 0xbf75a155, v71, -v143
	v_dual_fmamk_f32 v182, v107, 0xbf75a155, v144 :: v_dual_fmac_f32 v143, 0xbf75a155, v71
	v_fma_f32 v144, 0xbf75a155, v107, -v144
	v_fma_f32 v183, 0x3ed4b147, v71, -v145
	v_dual_fmamk_f32 v184, v107, 0x3ed4b147, v146 :: v_dual_fmac_f32 v145, 0x3ed4b147, v71
	;; [unrolled: 3-line block ×5, first 2 shown]
	v_fma_f32 v150, 0xbf27a4f4, v113, -v150
	v_fma_f32 v189, 0xbe11bafb, v111, -v151
	v_dual_fmac_f32 v151, 0xbe11bafb, v111 :: v_dual_add_f32 v130, v53, v130
	v_fma_f32 v152, 0xbe11bafb, v113, -v152
	v_fma_f32 v191, 0x3f575c64, v111, -v153
	v_dual_fmamk_f32 v192, v113, 0x3f575c64, v154 :: v_dual_fmac_f32 v153, 0x3f575c64, v111
	v_fma_f32 v154, 0x3f575c64, v113, -v154
	v_fma_f32 v193, 0xbf75a155, v111, -v155
	v_dual_fmamk_f32 v194, v113, 0xbf75a155, v156 :: v_dual_fmac_f32 v155, 0xbf75a155, v111
	v_fma_f32 v156, 0xbf75a155, v113, -v156
	v_fma_f32 v195, 0x3ed4b147, v111, -v117
	v_dual_fmac_f32 v117, 0x3ed4b147, v111 :: v_dual_fmamk_f32 v202, v125, 0x3ed4b147, v164
	v_fmamk_f32 v111, v113, 0x3ed4b147, v115
	v_fma_f32 v113, 0x3ed4b147, v113, -v115
	v_fma_f32 v115, 0xbf75a155, v119, -v157
	v_fmac_f32_e32 v157, 0xbf75a155, v119
	v_fma_f32 v196, 0x3f575c64, v119, -v159
	v_dual_fmac_f32 v159, 0x3f575c64, v119 :: v_dual_fmamk_f32 v200, v125, 0x3f575c64, v162
	v_fma_f32 v197, 0xbf27a4f4, v119, -v160
	v_dual_fmac_f32 v160, 0xbf27a4f4, v119 :: v_dual_fmamk_f32 v201, v125, 0xbf27a4f4, v163
	v_fma_f32 v198, 0x3ed4b147, v119, -v161
	v_dual_fmac_f32 v161, 0x3ed4b147, v119 :: v_dual_add_f32 v132, v53, v132
	v_fma_f32 v199, 0xbe11bafb, v119, -v123
	v_dual_fmac_f32 v123, 0xbe11bafb, v119 :: v_dual_add_f32 v36, v36, v64
	v_fmamk_f32 v119, v125, 0xbf75a155, v158
	v_fma_f32 v158, 0xbf75a155, v125, -v158
	v_fma_f32 v162, 0x3f575c64, v125, -v162
	;; [unrolled: 1-line block ×4, first 2 shown]
	v_fmamk_f32 v203, v125, 0xbe11bafb, v121
	v_fma_f32 v121, 0xbe11bafb, v125, -v121
	v_dual_add_f32 v125, v52, v165 :: v_dual_add_f32 v64, v53, v172
	v_dual_add_f32 v165, v53, v166 :: v_dual_add_f32 v36, v36, v65
	v_dual_add_f32 v166, v52, v167 :: v_dual_add_f32 v167, v53, v168
	v_add_f32_e32 v129, v52, v129
	v_dual_add_f32 v168, v52, v169 :: v_dual_add_f32 v169, v53, v170
	v_add_f32_e32 v53, v53, v54
	v_add_f32_e32 v54, v57, v68
	v_dual_add_f32 v68, v135, v127 :: v_dual_add_f32 v57, v58, v112
	v_add_f32_e32 v58, v134, v110
	v_dual_add_f32 v37, v37, v114 :: v_dual_add_f32 v114, v176, v167
	v_dual_add_f32 v131, v52, v131 :: v_dual_add_f32 v112, v175, v166
	s_delay_alu instid0(VALU_DEP_2)
	v_dual_add_f32 v170, v52, v171 :: v_dual_add_f32 v37, v37, v116
	v_add_f32_e32 v54, v63, v54
	v_add_f32_e32 v52, v52, v59
	;; [unrolled: 1-line block ×3, first 2 shown]
	v_dual_add_f32 v59, v173, v125 :: v_dual_add_f32 v64, v180, v64
	v_dual_add_f32 v65, v174, v165 :: v_dual_add_f32 v36, v36, v60
	v_add_f32_e32 v110, v136, v128
	v_dual_add_f32 v116, v137, v129 :: v_dual_add_f32 v125, v138, v130
	v_dual_add_f32 v127, v177, v168 :: v_dual_add_f32 v58, v142, v58
	;; [unrolled: 1-line block ×4, first 2 shown]
	v_add_f32_e32 v60, v182, v65
	v_dual_add_f32 v53, v62, v53 :: v_dual_add_f32 v62, v143, v68
	v_add_f32_e32 v68, v184, v114
	v_dual_add_f32 v37, v37, v118 :: v_dual_add_f32 v70, v146, v125
	v_dual_add_f32 v130, v140, v132 :: v_dual_add_f32 v57, v69, v57
	v_dual_add_f32 v55, v141, v55 :: v_dual_add_f32 v114, v147, v129
	v_add_f32_e32 v59, v181, v59
	v_dual_add_f32 v63, v144, v110 :: v_dual_add_f32 v110, v185, v127
	v_dual_add_f32 v65, v183, v112 :: v_dual_add_f32 v36, v36, v61
	;; [unrolled: 4-line block ×3, first 2 shown]
	v_add_f32_e32 v116, v148, v130
	v_dual_add_f32 v52, v109, v52 :: v_dual_add_f32 v57, v108, v57
	v_dual_add_f32 v55, v149, v55 :: v_dual_add_f32 v58, v150, v58
	;; [unrolled: 1-line block ×4, first 2 shown]
	v_add_f32_e32 v63, v191, v65
	v_dual_add_f32 v65, v192, v68 :: v_dual_add_f32 v68, v153, v69
	v_dual_add_f32 v107, v154, v70 :: v_dual_add_f32 v108, v156, v116
	;; [unrolled: 1-line block ×14, first 2 shown]
	s_delay_alu instid0(VALU_DEP_4) | instskip(NEXT) | instid1(VALU_DEP_4)
	v_dual_add_f32 v65, v164, v108 :: v_dual_add_f32 v68, v61, v67
	v_add_f32_e32 v69, v69, v126
	v_dual_add_f32 v63, v202, v70 :: v_dual_add_f32 v64, v161, v71
	v_add_f32_e32 v67, v203, v110
	v_dual_add_f32 v70, v123, v111 :: v_dual_add_f32 v71, v121, v112
	v_add_f32_e32 v61, v163, v107
	ds_store_2addr_b64 v100, v[68:69], v[36:37] offset1:55
	ds_store_2addr_b64 v100, v[54:55], v[58:59] offset0:110 offset1:165
	ds_store_2addr_b64 v106, v[62:63], v[66:67] offset0:92 offset1:147
	;; [unrolled: 1-line block ×4, first 2 shown]
	ds_store_b64 v100, v[52:53] offset:4400
	global_wb scope:SCOPE_SE
	s_wait_dscnt 0x0
	s_barrier_signal -1
	s_barrier_wait -1
	global_inv scope:SCOPE_SE
	s_clause 0xa
	global_load_b64 v[36:37], v[97:98], off offset:4840
	global_load_b64 v[56:57], v100, s[2:3] offset:440
	global_load_b64 v[68:69], v100, s[2:3] offset:880
	;; [unrolled: 1-line block ×10, first 2 shown]
	ds_load_2addr_b64 v[52:55], v100 offset1:55
	s_wait_loadcnt_dscnt 0xa00
	v_mul_f32_e32 v59, v53, v37
	v_mul_f32_e32 v58, v52, v37
	s_wait_loadcnt 0x9
	v_mul_f32_e32 v60, v55, v57
	v_mul_f32_e32 v37, v54, v57
	v_fma_f32 v57, v52, v36, -v59
	v_fmac_f32_e32 v58, v53, v36
	s_delay_alu instid0(VALU_DEP_4) | instskip(NEXT) | instid1(VALU_DEP_4)
	v_fma_f32 v36, v54, v56, -v60
	v_fmac_f32_e32 v37, v55, v56
	ds_store_2addr_b64 v100, v[57:58], v[36:37] offset1:55
	ds_load_2addr_b64 v[52:55], v100 offset0:110 offset1:165
	ds_load_2addr_b64 v[56:59], v106 offset0:92 offset1:147
	;; [unrolled: 1-line block ×4, first 2 shown]
	ds_load_b64 v[36:37], v100 offset:4400
	s_wait_loadcnt_dscnt 0x804
	v_mul_f32_e32 v120, v53, v69
	v_mul_f32_e32 v119, v52, v69
	s_wait_loadcnt 0x7
	v_mul_f32_e32 v121, v55, v71
	s_wait_loadcnt_dscnt 0x201
	v_dual_mul_f32 v69, v54, v71 :: v_dual_mul_f32 v126, v65, v114
	v_mul_f32_e32 v122, v57, v98
	v_mul_f32_e32 v71, v56, v98
	;; [unrolled: 1-line block ×5, first 2 shown]
	v_dual_mul_f32 v108, v60, v110 :: v_dual_mul_f32 v125, v63, v112
	s_wait_loadcnt_dscnt 0x0
	v_mul_f32_e32 v128, v37, v118
	v_mul_f32_e32 v110, v62, v112
	v_dual_mul_f32 v112, v64, v114 :: v_dual_mul_f32 v127, v67, v116
	v_mul_f32_e32 v114, v66, v116
	v_mul_f32_e32 v116, v36, v118
	v_fma_f32 v118, v52, v68, -v120
	v_dual_fmac_f32 v119, v53, v68 :: v_dual_fmac_f32 v98, v59, v107
	v_fma_f32 v68, v54, v70, -v121
	v_dual_fmac_f32 v69, v55, v70 :: v_dual_fmac_f32 v108, v61, v109
	;; [unrolled: 2-line block ×3, first 2 shown]
	v_fma_f32 v97, v58, v107, -v123
	v_fma_f32 v107, v60, v109, -v124
	;; [unrolled: 1-line block ×4, first 2 shown]
	v_fmac_f32_e32 v112, v65, v113
	v_fma_f32 v113, v66, v115, -v127
	v_fmac_f32_e32 v114, v67, v115
	v_fma_f32 v115, v36, v117, -v128
	v_fmac_f32_e32 v116, v37, v117
	ds_store_2addr_b64 v100, v[118:119], v[68:69] offset0:110 offset1:165
	ds_store_2addr_b64 v106, v[70:71], v[97:98] offset0:92 offset1:147
	;; [unrolled: 1-line block ×4, first 2 shown]
	ds_store_b64 v100, v[115:116] offset:4400
	global_wb scope:SCOPE_SE
	s_wait_dscnt 0x0
	s_barrier_signal -1
	s_barrier_wait -1
	global_inv scope:SCOPE_SE
	ds_load_2addr_b64 v[60:63], v100 offset1:55
	ds_load_b64 v[97:98], v100 offset:4400
	ds_load_2addr_b64 v[68:71], v100 offset0:110 offset1:165
	ds_load_2addr_b64 v[52:55], v105 offset0:184 offset1:239
	;; [unrolled: 1-line block ×4, first 2 shown]
	v_add_nc_u32_e32 v107, 0xc00, v100
	global_wb scope:SCOPE_SE
	s_wait_dscnt 0x0
	s_barrier_signal -1
	s_barrier_wait -1
	global_inv scope:SCOPE_SE
	v_dual_add_f32 v36, v60, v62 :: v_dual_add_f32 v37, v61, v63
	v_dual_add_f32 v108, v97, v62 :: v_dual_add_f32 v111, v55, v69
	v_add_f32_e32 v109, v98, v63
	v_dual_sub_f32 v62, v62, v97 :: v_dual_sub_f32 v63, v63, v98
	v_dual_add_f32 v110, v54, v68 :: v_dual_sub_f32 v113, v69, v55
	v_dual_add_f32 v114, v52, v70 :: v_dual_sub_f32 v117, v71, v53
	;; [unrolled: 1-line block ×3, first 2 shown]
	v_dual_add_f32 v36, v36, v68 :: v_dual_mul_f32 v127, 0x3ed4b147, v109
	v_dual_sub_f32 v112, v68, v54 :: v_dual_add_f32 v115, v53, v71
	v_dual_add_f32 v122, v56, v66 :: v_dual_sub_f32 v125, v67, v57
	v_dual_sub_f32 v124, v66, v56 :: v_dual_add_f32 v37, v37, v69
	v_mul_f32_e32 v69, 0x3f575c64, v109
	v_mul_f32_e32 v68, 0xbf0a6770, v63
	;; [unrolled: 1-line block ×4, first 2 shown]
	v_dual_mul_f32 v129, 0xbe11bafb, v109 :: v_dual_add_f32 v36, v36, v70
	v_mul_f32_e32 v130, 0xbf4178ce, v63
	v_dual_mul_f32 v63, 0xbe903f40, v63 :: v_dual_mul_f32 v154, 0xbe903f40, v121
	v_dual_mul_f32 v132, 0xbf68dda4, v113 :: v_dual_add_f32 v37, v37, v71
	v_mul_f32_e32 v140, 0xbf7d64f0, v117
	v_mul_f32_e32 v142, 0x3e903f40, v117
	v_dual_mul_f32 v144, 0x3f68dda4, v117 :: v_dual_fmamk_f32 v165, v62, 0x3f68dda4, v127
	v_mul_f32_e32 v146, 0xbf0a6770, v117
	v_mul_f32_e32 v117, 0xbf4178ce, v117
	v_dual_mul_f32 v131, 0xbf27a4f4, v109 :: v_dual_fmamk_f32 v168, v108, 0xbf27a4f4, v130
	v_dual_mul_f32 v109, 0xbf75a155, v109 :: v_dual_fmamk_f32 v170, v108, 0xbf75a155, v63
	v_dual_sub_f32 v116, v70, v52 :: v_dual_add_f32 v119, v59, v65
	v_mul_f32_e32 v134, 0xbf4178ce, v113
	s_delay_alu instid0(VALU_DEP_3)
	v_dual_mul_f32 v136, 0x3e903f40, v113 :: v_dual_fmamk_f32 v171, v62, 0x3e903f40, v109
	v_mul_f32_e32 v137, 0xbf75a155, v111
	v_dual_mul_f32 v138, 0x3f7d64f0, v113 :: v_dual_fmamk_f32 v167, v62, 0x3f7d64f0, v129
	v_mul_f32_e32 v145, 0x3ed4b147, v115
	v_dual_mul_f32 v156, 0xbe903f40, v125 :: v_dual_fmac_f32 v109, 0xbe903f40, v62
	v_dual_mul_f32 v158, 0x3f0a6770, v125 :: v_dual_fmamk_f32 v71, v62, 0x3f0a6770, v69
	v_mul_f32_e32 v160, 0xbf4178ce, v125
	v_fmac_f32_e32 v69, 0xbf0a6770, v62
	v_fmamk_f32 v70, v108, 0x3f575c64, v68
	v_fma_f32 v68, 0x3f575c64, v108, -v68
	v_fmac_f32_e32 v127, 0xbf68dda4, v62
	v_dual_mul_f32 v133, 0x3ed4b147, v111 :: v_dual_fmamk_f32 v164, v108, 0x3ed4b147, v126
	v_fmac_f32_e32 v129, 0xbf7d64f0, v62
	s_delay_alu instid0(VALU_DEP_4)
	v_dual_fmamk_f32 v169, v62, 0x3f4178ce, v131 :: v_dual_add_f32 v68, v60, v68
	v_fmac_f32_e32 v131, 0xbf4178ce, v62
	v_dual_mul_f32 v135, 0xbf27a4f4, v111 :: v_dual_fmamk_f32 v172, v110, 0xbf27a4f4, v134
	v_fmamk_f32 v62, v110, 0x3ed4b147, v132
	v_mul_f32_e32 v162, 0x3f68dda4, v125
	v_mul_f32_e32 v125, 0xbf7d64f0, v125
	v_dual_mul_f32 v139, 0xbe11bafb, v111 :: v_dual_fmamk_f32 v166, v108, 0xbe11bafb, v128
	v_dual_mul_f32 v111, 0x3f575c64, v111 :: v_dual_sub_f32 v120, v64, v58
	v_add_f32_e32 v123, v57, v67
	v_dual_mul_f32 v113, 0x3f0a6770, v113 :: v_dual_add_f32 v70, v60, v70
	v_dual_mul_f32 v141, 0xbe11bafb, v115 :: v_dual_fmamk_f32 v176, v110, 0xbe11bafb, v138
	s_delay_alu instid0(VALU_DEP_2)
	v_dual_mul_f32 v147, 0x3f575c64, v115 :: v_dual_fmamk_f32 v178, v110, 0x3f575c64, v113
	v_fma_f32 v128, 0xbe11bafb, v108, -v128
	v_fmamk_f32 v174, v110, 0xbf75a155, v136
	v_fmamk_f32 v175, v112, 0xbe903f40, v137
	v_fmac_f32_e32 v137, 0x3e903f40, v112
	v_dual_mul_f32 v143, 0xbf75a155, v115 :: v_dual_fmamk_f32 v180, v114, 0xbf75a155, v142
	v_dual_mul_f32 v115, 0xbf27a4f4, v115 :: v_dual_fmamk_f32 v186, v114, 0xbf27a4f4, v117
	v_mul_f32_e32 v148, 0xbf4178ce, v121
	v_mul_f32_e32 v150, 0x3f7d64f0, v121
	;; [unrolled: 1-line block ×3, first 2 shown]
	v_dual_mul_f32 v155, 0xbf75a155, v119 :: v_dual_fmamk_f32 v192, v118, 0xbf75a155, v154
	v_mul_f32_e32 v121, 0x3f68dda4, v121
	v_mul_f32_e32 v157, 0xbf75a155, v123
	v_fma_f32 v126, 0x3ed4b147, v108, -v126
	v_fma_f32 v130, 0xbf27a4f4, v108, -v130
	;; [unrolled: 1-line block ×3, first 2 shown]
	v_fmamk_f32 v108, v112, 0x3f68dda4, v133
	v_dual_mul_f32 v163, 0x3ed4b147, v123 :: v_dual_fmamk_f32 v194, v118, 0x3ed4b147, v121
	v_fma_f32 v132, 0x3ed4b147, v110, -v132
	v_fmamk_f32 v173, v112, 0x3f4178ce, v135
	v_fmac_f32_e32 v135, 0xbf4178ce, v112
	v_mul_f32_e32 v149, 0xbf27a4f4, v119
	v_fmamk_f32 v177, v112, 0xbf7d64f0, v139
	v_fmac_f32_e32 v139, 0x3f7d64f0, v112
	v_fmamk_f32 v179, v112, 0xbf0a6770, v111
	v_fmamk_f32 v187, v116, 0x3f4178ce, v115
	v_fmac_f32_e32 v115, 0xbf4178ce, v116
	v_dual_mul_f32 v161, 0xbf27a4f4, v123 :: v_dual_fmamk_f32 v198, v122, 0xbf27a4f4, v160
	v_dual_add_f32 v127, v61, v127 :: v_dual_add_f32 v128, v60, v128
	v_fmamk_f32 v185, v116, 0x3f0a6770, v147
	v_fmac_f32_e32 v147, 0xbf0a6770, v116
	v_dual_mul_f32 v159, 0x3f575c64, v123 :: v_dual_fmamk_f32 v190, v118, 0x3f575c64, v152
	v_dual_mul_f32 v123, 0xbe11bafb, v123 :: v_dual_fmamk_f32 v188, v118, 0xbe11bafb, v150
	v_dual_add_f32 v131, v61, v131 :: v_dual_add_f32 v36, v36, v64
	v_add_f32_e32 v64, v61, v171
	v_mul_f32_e32 v151, 0xbe11bafb, v119
	v_dual_mul_f32 v153, 0x3f575c64, v119 :: v_dual_fmamk_f32 v184, v114, 0x3f575c64, v146
	v_dual_mul_f32 v119, 0x3ed4b147, v119 :: v_dual_fmamk_f32 v182, v114, 0x3ed4b147, v144
	v_fmac_f32_e32 v133, 0xbf68dda4, v112
	v_fma_f32 v134, 0xbf27a4f4, v110, -v134
	v_fma_f32 v136, 0xbf75a155, v110, -v136
	;; [unrolled: 1-line block ×4, first 2 shown]
	v_dual_fmac_f32 v111, 0x3f0a6770, v112 :: v_dual_add_f32 v126, v60, v126
	v_fmamk_f32 v112, v114, 0xbe11bafb, v140
	v_dual_fmamk_f32 v113, v116, 0x3f7d64f0, v141 :: v_dual_add_f32 v62, v62, v70
	v_fma_f32 v140, 0xbe11bafb, v114, -v140
	v_dual_fmac_f32 v141, 0xbf7d64f0, v116 :: v_dual_add_f32 v130, v60, v130
	v_fma_f32 v142, 0xbf75a155, v114, -v142
	v_fmamk_f32 v183, v116, 0xbf68dda4, v145
	v_fma_f32 v144, 0x3ed4b147, v114, -v144
	v_fmac_f32_e32 v145, 0x3f68dda4, v116
	v_fma_f32 v146, 0x3f575c64, v114, -v146
	v_fma_f32 v114, 0xbf27a4f4, v114, -v117
	v_dual_fmamk_f32 v193, v120, 0x3e903f40, v155 :: v_dual_add_f32 v64, v179, v64
	v_dual_fmamk_f32 v200, v122, 0xbe11bafb, v125 :: v_dual_add_f32 v69, v61, v69
	v_fmamk_f32 v181, v116, 0xbe903f40, v143
	v_fmac_f32_e32 v143, 0x3e903f40, v116
	v_fmamk_f32 v116, v118, 0xbf27a4f4, v148
	v_dual_fmamk_f32 v202, v124, 0x3f7d64f0, v123 :: v_dual_add_f32 v129, v61, v129
	v_fmamk_f32 v117, v120, 0x3f4178ce, v149
	v_dual_fmac_f32 v149, 0xbf4178ce, v120 :: v_dual_add_f32 v36, v36, v66
	v_add_f32_e32 v37, v37, v65
	v_add_f32_e32 v65, v132, v68
	v_fma_f32 v148, 0xbf27a4f4, v118, -v148
	v_fmamk_f32 v189, v120, 0xbf7d64f0, v151
	v_fma_f32 v150, 0xbe11bafb, v118, -v150
	v_fmac_f32_e32 v151, 0x3f7d64f0, v120
	v_fmamk_f32 v191, v120, 0x3f0a6770, v153
	v_fma_f32 v152, 0x3f575c64, v118, -v152
	v_fmac_f32_e32 v153, 0xbf0a6770, v120
	v_fma_f32 v154, 0xbf75a155, v118, -v154
	v_fmac_f32_e32 v155, 0xbe903f40, v120
	v_fmamk_f32 v195, v120, 0xbf68dda4, v119
	v_fma_f32 v118, 0x3ed4b147, v118, -v121
	v_dual_fmamk_f32 v196, v122, 0x3f575c64, v158 :: v_dual_add_f32 v71, v61, v71
	v_fmamk_f32 v197, v124, 0xbf0a6770, v159
	v_fma_f32 v158, 0x3f575c64, v122, -v158
	v_fmac_f32_e32 v159, 0x3f0a6770, v124
	v_fma_f32 v160, 0xbf27a4f4, v122, -v160
	v_fmamk_f32 v199, v122, 0x3ed4b147, v162
	v_fma_f32 v162, 0x3ed4b147, v122, -v162
	v_fmamk_f32 v201, v124, 0xbf68dda4, v163
	v_dual_fmac_f32 v123, 0xbf7d64f0, v124 :: v_dual_add_f32 v70, v135, v127
	v_fmac_f32_e32 v119, 0x3f68dda4, v120
	v_fmamk_f32 v120, v122, 0xbf75a155, v156
	v_fmamk_f32 v121, v124, 0x3e903f40, v157
	v_fma_f32 v156, 0xbf75a155, v122, -v156
	v_fmac_f32_e32 v157, 0xbe903f40, v124
	v_fma_f32 v122, 0xbe11bafb, v122, -v125
	v_fmamk_f32 v125, v124, 0x3f4178ce, v161
	v_add_f32_e32 v36, v36, v56
	v_dual_fmac_f32 v161, 0xbf4178ce, v124 :: v_dual_add_f32 v56, v112, v62
	v_dual_add_f32 v62, v140, v65 :: v_dual_fmac_f32 v163, 0x3f68dda4, v124
	v_add_f32_e32 v124, v60, v164
	v_dual_add_f32 v164, v61, v165 :: v_dual_add_f32 v165, v60, v166
	v_dual_add_f32 v166, v61, v167 :: v_dual_add_f32 v167, v60, v168
	v_add_f32_e32 v168, v61, v169
	v_dual_add_f32 v61, v61, v109 :: v_dual_add_f32 v56, v116, v56
	v_add_f32_e32 v37, v37, v67
	v_add_f32_e32 v66, v133, v69
	v_dual_add_f32 v68, v173, v164 :: v_dual_add_f32 v69, v134, v126
	v_add_f32_e32 v126, v176, v167
	v_add_f32_e32 v169, v60, v170
	;; [unrolled: 1-line block ×5, first 2 shown]
	v_dual_add_f32 v37, v37, v57 :: v_dual_add_f32 v108, v175, v166
	s_delay_alu instid0(VALU_DEP_3)
	v_dual_add_f32 v60, v110, v60 :: v_dual_add_f32 v57, v113, v63
	v_add_f32_e32 v63, v141, v66
	v_add_f32_e32 v66, v181, v68
	;; [unrolled: 1-line block ×8, first 2 shown]
	s_delay_alu instid0(VALU_DEP_4) | instskip(SKIP_2) | instid1(VALU_DEP_3)
	v_dual_add_f32 v114, v119, v61 :: v_dual_add_f32 v65, v180, v67
	v_dual_add_f32 v58, v148, v62 :: v_dual_add_f32 v127, v177, v168
	;; [unrolled: 1-line block ×4, first 2 shown]
	v_add_f32_e32 v108, v145, v124
	v_add_f32_e32 v64, v187, v64
	;; [unrolled: 1-line block ×9, first 2 shown]
	v_dual_add_f32 v109, v136, v128 :: v_dual_add_f32 v128, v138, v130
	v_add_f32_e32 v59, v149, v63
	v_add_f32_e32 v63, v189, v66
	s_delay_alu instid0(VALU_DEP_4)
	v_add_f32_e32 v116, v37, v53
	v_add_f32_e32 v66, v151, v68
	v_add_f32_e32 v130, v178, v169
	v_add_f32_e32 v68, v191, v70
	v_add_f32_e32 v70, v153, v108
	v_add_f32_e32 v108, v193, v110
	v_add_f32_e32 v110, v155, v112
	v_dual_add_f32 v112, v195, v64 :: v_dual_add_f32 v67, v142, v69
	v_add_f32_e32 v69, v182, v71
	v_add_f32_e32 v71, v144, v109
	;; [unrolled: 1-line block ×9, first 2 shown]
	s_delay_alu instid0(VALU_DEP_4)
	v_dual_add_f32 v61, v125, v68 :: v_dual_add_f32 v58, v158, v65
	v_dual_add_f32 v65, v201, v108 :: v_dual_add_f32 v108, v116, v55
	v_add_f32_e32 v109, v154, v111
	v_add_f32_e32 v111, v194, v113
	;; [unrolled: 1-line block ×3, first 2 shown]
	v_dual_add_f32 v57, v117, v57 :: v_dual_add_f32 v64, v199, v71
	v_dual_add_f32 v71, v115, v54 :: v_dual_add_f32 v62, v160, v69
	s_delay_alu instid0(VALU_DEP_4)
	v_dual_add_f32 v68, v200, v111 :: v_dual_add_f32 v69, v202, v112
	v_add_f32_e32 v37, v157, v59
	v_dual_add_f32 v59, v159, v66 :: v_dual_add_f32 v60, v198, v67
	v_dual_add_f32 v66, v162, v109 :: v_dual_add_f32 v67, v163, v110
	;; [unrolled: 1-line block ×3, first 2 shown]
	v_add_f32_e32 v53, v121, v57
	v_add_f32_e32 v57, v197, v63
	v_dual_add_f32 v63, v161, v70 :: v_dual_add_f32 v70, v71, v97
	v_add_f32_e32 v71, v108, v98
	ds_store_2addr_b64 v101, v[64:65], v[68:69] offset0:4 offset1:5
	ds_store_2addr_b64 v101, v[54:55], v[66:67] offset0:6 offset1:7
	;; [unrolled: 1-line block ×3, first 2 shown]
	ds_store_b64 v101, v[36:37] offset:80
	ds_store_2addr_b64 v101, v[56:57], v[60:61] offset0:2 offset1:3
	ds_store_2addr_b64 v101, v[70:71], v[52:53] offset1:1
	global_wb scope:SCOPE_SE
	s_wait_dscnt 0x0
	s_barrier_signal -1
	s_barrier_wait -1
	global_inv scope:SCOPE_SE
	ds_load_2addr_b64 v[52:55], v100 offset1:55
	ds_load_2addr_b64 v[68:71], v100 offset0:121 offset1:176
	ds_load_2addr_b64 v[64:67], v106 offset0:114 offset1:169
	;; [unrolled: 1-line block ×4, first 2 shown]
	s_and_saveexec_b32 s2, vcc_lo
	s_cbranch_execz .LBB0_7
; %bb.6:
	ds_load_2addr_b64 v[36:39], v100 offset0:110 offset1:231
	ds_load_2addr_b64 v[48:51], v105 offset0:96 offset1:217
	ds_load_b64 v[95:96], v100 offset:4752
.LBB0_7:
	s_wait_alu 0xfffe
	s_or_b32 exec_lo, exec_lo, s2
	s_wait_dscnt 0x2
	v_mul_f32_e32 v98, v23, v65
	v_mul_f32_e32 v97, v21, v69
	;; [unrolled: 1-line block ×4, first 2 shown]
	global_wb scope:SCOPE_SE
	s_wait_dscnt 0x0
	v_fmac_f32_e32 v98, v22, v64
	v_dual_fmac_f32 v97, v20, v68 :: v_dual_mul_f32 v68, v15, v57
	v_fma_f32 v20, v20, v69, -v21
	v_mul_f32_e32 v21, v13, v61
	v_mul_f32_e32 v13, v13, v60
	s_barrier_signal -1
	v_fmac_f32_e32 v68, v14, v56
	s_barrier_wait -1
	v_dual_fmac_f32 v21, v12, v60 :: v_dual_mul_f32 v60, v17, v71
	v_fma_f32 v22, v22, v65, -v23
	global_inv scope:SCOPE_SE
	v_fmac_f32_e32 v60, v16, v70
	v_fma_f32 v23, v12, v61, -v13
	v_dual_mul_f32 v12, v15, v56 :: v_dual_mul_f32 v13, v17, v70
	v_mul_f32_e32 v61, v19, v67
	v_mul_f32_e32 v15, v19, v66
	s_delay_alu instid0(VALU_DEP_4) | instskip(NEXT) | instid1(VALU_DEP_4)
	v_sub_f32_e32 v17, v22, v23
	v_fma_f32 v56, v14, v57, -v12
	v_fma_f32 v64, v16, v71, -v13
	v_dual_fmac_f32 v61, v18, v66 :: v_dual_mul_f32 v66, v11, v59
	v_sub_f32_e32 v16, v68, v21
	v_dual_add_f32 v12, v98, v21 :: v_dual_mul_f32 v57, v9, v63
	v_add_f32_e32 v14, v52, v97
	s_delay_alu instid0(VALU_DEP_4)
	v_fmac_f32_e32 v66, v10, v58
	v_fma_f32 v65, v18, v67, -v15
	v_sub_f32_e32 v15, v20, v56
	v_mul_f32_e32 v13, v9, v62
	v_fma_f32 v9, -0.5, v12, v52
	v_dual_fmac_f32 v57, v8, v62 :: v_dual_add_f32 v18, v97, v68
	v_sub_f32_e32 v62, v65, v64
	s_delay_alu instid0(VALU_DEP_3) | instskip(SKIP_3) | instid1(VALU_DEP_4)
	v_fmamk_f32 v12, v15, 0xbf737871, v9
	v_fma_f32 v8, v8, v63, -v13
	v_add_f32_e32 v13, v14, v98
	v_dual_sub_f32 v14, v97, v98 :: v_dual_fmac_f32 v9, 0x3f737871, v15
	v_fmac_f32_e32 v12, 0xbf167918, v17
	s_delay_alu instid0(VALU_DEP_3) | instskip(NEXT) | instid1(VALU_DEP_3)
	v_add_f32_e32 v13, v13, v21
	v_add_f32_e32 v19, v14, v16
	v_mul_f32_e32 v11, v11, v58
	v_fma_f32 v14, -0.5, v18, v52
	v_add_f32_e32 v58, v22, v23
	v_add_f32_e32 v16, v13, v68
	;; [unrolled: 1-line block ×3, first 2 shown]
	s_delay_alu instid0(VALU_DEP_4) | instskip(SKIP_3) | instid1(VALU_DEP_4)
	v_fmamk_f32 v18, v17, 0x3f737871, v14
	v_fmac_f32_e32 v12, 0x3e9e377a, v19
	v_fma_f32 v11, v10, v59, -v11
	v_dual_sub_f32 v10, v98, v97 :: v_dual_sub_f32 v13, v21, v68
	v_fmac_f32_e32 v18, 0xbf167918, v15
	v_fmac_f32_e32 v9, 0x3f167918, v17
	v_fmac_f32_e32 v14, 0xbf737871, v17
	v_sub_f32_e32 v21, v98, v21
	v_add_f32_e32 v59, v10, v13
	v_dual_add_f32 v13, v52, v22 :: v_dual_sub_f32 v52, v97, v68
	v_fma_f32 v10, -0.5, v58, v53
	v_fmac_f32_e32 v14, 0x3f167918, v15
	s_delay_alu instid0(VALU_DEP_4)
	v_dual_fmac_f32 v18, 0x3e9e377a, v59 :: v_dual_add_f32 v15, v20, v56
	v_fmac_f32_e32 v9, 0x3e9e377a, v19
	v_add_f32_e32 v17, v13, v23
	v_fmamk_f32 v13, v52, 0x3f737871, v10
	v_dual_sub_f32 v19, v20, v22 :: v_dual_fmac_f32 v14, 0x3e9e377a, v59
	v_fma_f32 v15, -0.5, v15, v53
	v_fmac_f32_e32 v10, 0xbf737871, v52
	v_dual_sub_f32 v58, v56, v23 :: v_dual_add_f32 v17, v17, v56
	v_sub_f32_e32 v20, v22, v20
	v_dual_sub_f32 v22, v23, v56 :: v_dual_add_f32 v23, v61, v57
	v_fmac_f32_e32 v13, 0x3f167918, v21
	s_delay_alu instid0(VALU_DEP_4) | instskip(NEXT) | instid1(VALU_DEP_3)
	v_dual_add_f32 v53, v19, v58 :: v_dual_fmac_f32 v10, 0xbf167918, v21
	v_add_f32_e32 v56, v20, v22
	s_delay_alu instid0(VALU_DEP_4) | instskip(SKIP_4) | instid1(VALU_DEP_4)
	v_fma_f32 v20, -0.5, v23, v54
	v_dual_sub_f32 v23, v64, v11 :: v_dual_sub_f32 v58, v66, v57
	v_fmamk_f32 v19, v21, 0xbf737871, v15
	v_fmac_f32_e32 v15, 0x3f737871, v21
	v_dual_add_f32 v21, v54, v60 :: v_dual_fmac_f32 v10, 0x3e9e377a, v53
	v_fmamk_f32 v22, v23, 0xbf737871, v20
	s_delay_alu instid0(VALU_DEP_4)
	v_fmac_f32_e32 v19, 0x3f167918, v52
	v_fmac_f32_e32 v20, 0x3f737871, v23
	v_dual_fmac_f32 v15, 0xbf167918, v52 :: v_dual_sub_f32 v52, v60, v61
	v_fmac_f32_e32 v13, 0x3e9e377a, v53
	v_sub_f32_e32 v53, v65, v8
	v_add_f32_e32 v59, v60, v66
	s_delay_alu instid0(VALU_DEP_4) | instskip(NEXT) | instid1(VALU_DEP_3)
	v_add_f32_e32 v58, v52, v58
	v_fmac_f32_e32 v20, 0x3f167918, v53
	v_add_f32_e32 v21, v21, v61
	v_fmac_f32_e32 v22, 0xbf167918, v53
	v_fma_f32 v54, -0.5, v59, v54
	s_delay_alu instid0(VALU_DEP_3) | instskip(NEXT) | instid1(VALU_DEP_3)
	v_dual_fmac_f32 v20, 0x3e9e377a, v58 :: v_dual_add_f32 v21, v21, v57
	v_dual_fmac_f32 v19, 0x3e9e377a, v56 :: v_dual_fmac_f32 v22, 0x3e9e377a, v58
	v_sub_f32_e32 v58, v61, v60
	v_sub_f32_e32 v60, v60, v66
	v_sub_f32_e32 v59, v57, v66
	v_fmac_f32_e32 v15, 0x3e9e377a, v56
	v_fmamk_f32 v56, v53, 0x3f737871, v54
	v_dual_fmac_f32 v54, 0xbf737871, v53 :: v_dual_add_f32 v53, v55, v64
	s_delay_alu instid0(VALU_DEP_2) | instskip(SKIP_1) | instid1(VALU_DEP_3)
	v_dual_sub_f32 v61, v61, v57 :: v_dual_fmac_f32 v56, 0xbf167918, v23
	v_add_f32_e32 v52, v21, v66
	v_dual_add_f32 v21, v65, v8 :: v_dual_fmac_f32 v54, 0x3f167918, v23
	s_delay_alu instid0(VALU_DEP_1) | instskip(NEXT) | instid1(VALU_DEP_1)
	v_fma_f32 v21, -0.5, v21, v55
	v_dual_fmamk_f32 v23, v60, 0x3f737871, v21 :: v_dual_add_f32 v58, v58, v59
	v_add_f32_e32 v59, v64, v11
	v_add_f32_e32 v53, v53, v65
	v_fmac_f32_e32 v21, 0xbf737871, v60
	s_delay_alu instid0(VALU_DEP_4) | instskip(NEXT) | instid1(VALU_DEP_4)
	v_fmac_f32_e32 v56, 0x3e9e377a, v58
	v_dual_fmac_f32 v54, 0x3e9e377a, v58 :: v_dual_fmac_f32 v55, -0.5, v59
	s_delay_alu instid0(VALU_DEP_4) | instskip(SKIP_1) | instid1(VALU_DEP_3)
	v_dual_add_f32 v53, v53, v8 :: v_dual_sub_f32 v58, v64, v65
	v_dual_sub_f32 v59, v11, v8 :: v_dual_sub_f32 v8, v8, v11
	v_fmamk_f32 v57, v61, 0xbf737871, v55
	v_fmac_f32_e32 v55, 0x3f737871, v61
	s_delay_alu instid0(VALU_DEP_3) | instskip(NEXT) | instid1(VALU_DEP_4)
	v_dual_fmac_f32 v23, 0x3f167918, v61 :: v_dual_add_f32 v58, v58, v59
	v_add_f32_e32 v8, v62, v8
	s_delay_alu instid0(VALU_DEP_4) | instskip(NEXT) | instid1(VALU_DEP_4)
	v_fmac_f32_e32 v57, 0x3f167918, v60
	v_fmac_f32_e32 v55, 0xbf167918, v60
	v_fmac_f32_e32 v21, 0xbf167918, v61
	v_add_f32_e32 v53, v53, v11
	v_fmac_f32_e32 v23, 0x3e9e377a, v58
	v_fmac_f32_e32 v57, 0x3e9e377a, v8
	;; [unrolled: 1-line block ×4, first 2 shown]
	ds_store_2addr_b64 v103, v[16:17], v[12:13] offset1:11
	ds_store_2addr_b64 v103, v[18:19], v[14:15] offset0:22 offset1:33
	ds_store_b64 v103, v[9:10] offset:352
	ds_store_2addr_b64 v102, v[52:53], v[22:23] offset1:11
	ds_store_2addr_b64 v102, v[56:57], v[54:55] offset0:22 offset1:33
	ds_store_b64 v102, v[20:21] offset:352
	s_and_saveexec_b32 s2, vcc_lo
	s_cbranch_execz .LBB0_9
; %bb.8:
	v_dual_mul_f32 v8, v5, v38 :: v_dual_mul_f32 v9, v3, v95
	v_mul_f32_e32 v10, v7, v48
	v_dual_mul_f32 v11, v7, v49 :: v_dual_mul_f32 v12, v1, v51
	s_delay_alu instid0(VALU_DEP_3) | instskip(NEXT) | instid1(VALU_DEP_4)
	v_fma_f32 v8, v4, v39, -v8
	v_fma_f32 v9, v2, v96, -v9
	v_mul_f32_e32 v1, v1, v50
	v_fma_f32 v10, v6, v49, -v10
	v_dual_fmac_f32 v11, v6, v48 :: v_dual_fmac_f32 v12, v0, v50
	s_delay_alu instid0(VALU_DEP_4) | instskip(SKIP_2) | instid1(VALU_DEP_4)
	v_dual_add_f32 v6, v8, v9 :: v_dual_mul_f32 v13, v5, v39
	v_mul_f32_e32 v14, v3, v96
	v_fma_f32 v15, v0, v51, -v1
	v_sub_f32_e32 v0, v11, v12
	s_delay_alu instid0(VALU_DEP_4) | instskip(SKIP_3) | instid1(VALU_DEP_4)
	v_fma_f32 v1, -0.5, v6, v37
	v_fmac_f32_e32 v13, v4, v38
	v_add_f32_e32 v17, v37, v8
	v_add_f32_e32 v5, v10, v15
	v_dual_fmac_f32 v14, v2, v95 :: v_dual_fmamk_f32 v3, v0, 0x3f737871, v1
	v_dual_sub_f32 v4, v15, v9 :: v_dual_fmac_f32 v1, 0xbf737871, v0
	s_delay_alu instid0(VALU_DEP_3) | instskip(NEXT) | instid1(VALU_DEP_3)
	v_fma_f32 v5, -0.5, v5, v37
	v_sub_f32_e32 v6, v13, v14
	s_delay_alu instid0(VALU_DEP_1) | instskip(NEXT) | instid1(VALU_DEP_1)
	v_dual_sub_f32 v16, v9, v15 :: v_dual_fmamk_f32 v7, v6, 0xbf737871, v5
	v_fmac_f32_e32 v7, 0xbf167918, v0
	v_dual_sub_f32 v2, v10, v8 :: v_dual_fmac_f32 v3, 0xbf167918, v6
	v_fmac_f32_e32 v1, 0x3f167918, v6
	s_delay_alu instid0(VALU_DEP_2) | instskip(SKIP_1) | instid1(VALU_DEP_2)
	v_dual_fmac_f32 v5, 0x3f737871, v6 :: v_dual_add_f32 v2, v2, v4
	v_sub_f32_e32 v4, v8, v10
	v_dual_sub_f32 v8, v8, v9 :: v_dual_fmac_f32 v3, 0x3e9e377a, v2
	s_delay_alu instid0(VALU_DEP_2) | instskip(SKIP_3) | instid1(VALU_DEP_3)
	v_add_f32_e32 v4, v4, v16
	v_add_f32_e32 v6, v17, v10
	v_dual_fmac_f32 v1, 0x3e9e377a, v2 :: v_dual_sub_f32 v10, v10, v15
	v_add_f32_e32 v17, v11, v12
	v_dual_fmac_f32 v7, 0x3e9e377a, v4 :: v_dual_add_f32 v6, v6, v15
	v_dual_add_f32 v16, v13, v14 :: v_dual_fmac_f32 v5, 0x3f167918, v0
	v_sub_f32_e32 v15, v11, v13
	s_delay_alu instid0(VALU_DEP_2) | instskip(NEXT) | instid1(VALU_DEP_3)
	v_fma_f32 v0, -0.5, v16, v36
	v_dual_sub_f32 v16, v12, v14 :: v_dual_fmac_f32 v5, 0x3e9e377a, v4
	v_fma_f32 v4, -0.5, v17, v36
	s_delay_alu instid0(VALU_DEP_2) | instskip(SKIP_2) | instid1(VALU_DEP_4)
	v_dual_fmamk_f32 v2, v10, 0xbf737871, v0 :: v_dual_add_f32 v15, v15, v16
	v_add_f32_e32 v16, v36, v13
	v_add_f32_e32 v9, v6, v9
	v_dual_sub_f32 v13, v13, v11 :: v_dual_fmamk_f32 v6, v8, 0x3f737871, v4
	s_delay_alu instid0(VALU_DEP_4) | instskip(SKIP_2) | instid1(VALU_DEP_4)
	v_fmac_f32_e32 v2, 0x3f167918, v8
	v_sub_f32_e32 v17, v14, v12
	v_dual_fmac_f32 v4, 0xbf737871, v8 :: v_dual_add_f32 v11, v16, v11
	v_fmac_f32_e32 v6, 0x3f167918, v10
	s_delay_alu instid0(VALU_DEP_4) | instskip(NEXT) | instid1(VALU_DEP_4)
	v_fmac_f32_e32 v2, 0x3e9e377a, v15
	v_dual_fmac_f32 v0, 0x3f737871, v10 :: v_dual_add_f32 v13, v13, v17
	s_delay_alu instid0(VALU_DEP_4) | instskip(SKIP_1) | instid1(VALU_DEP_3)
	v_dual_fmac_f32 v4, 0xbf167918, v10 :: v_dual_add_f32 v11, v11, v12
	v_lshlrev_b32_e32 v12, 3, v104
	v_fmac_f32_e32 v0, 0xbf167918, v8
	s_delay_alu instid0(VALU_DEP_4) | instskip(NEXT) | instid1(VALU_DEP_4)
	v_fmac_f32_e32 v6, 0x3e9e377a, v13
	v_fmac_f32_e32 v4, 0x3e9e377a, v13
	v_add_f32_e32 v8, v11, v14
	v_add_nc_u32_e32 v10, 0x1000, v12
	v_fmac_f32_e32 v0, 0x3e9e377a, v15
	ds_store_2addr_b64 v10, v[8:9], v[4:5] offset0:38 offset1:49
	ds_store_2addr_b64 v10, v[0:1], v[2:3] offset0:60 offset1:71
	ds_store_b64 v12, v[6:7] offset:4752
.LBB0_9:
	s_wait_alu 0xfffe
	s_or_b32 exec_lo, exec_lo, s2
	global_wb scope:SCOPE_SE
	s_wait_dscnt 0x0
	s_barrier_signal -1
	s_barrier_wait -1
	global_inv scope:SCOPE_SE
	ds_load_2addr_b64 v[2:5], v100 offset1:55
	ds_load_2addr_b64 v[6:9], v100 offset0:110 offset1:165
	v_add_nc_u32_e32 v1, 0x400, v100
	v_add_nc_u32_e32 v0, 0x800, v100
	s_mov_b32 s2, 0xdfd760e6
	s_mov_b32 s3, 0x3f5b14bb
	s_wait_dscnt 0x0
	v_dual_mul_f32 v36, v45, v5 :: v_dual_mul_f32 v39, v47, v6
	ds_load_2addr_b64 v[10:13], v1 offset0:92 offset1:147
	ds_load_b64 v[22:23], v100 offset:4400
	ds_load_2addr_b64 v[14:17], v0 offset0:74 offset1:129
	ds_load_2addr_b64 v[18:21], v0 offset0:184 offset1:239
	v_dual_mul_f32 v37, v45, v4 :: v_dual_mul_f32 v38, v47, v7
	v_dual_mul_f32 v45, v41, v9 :: v_dual_fmac_f32 v36, v44, v4
	v_mul_f32_e32 v41, v41, v8
	s_delay_alu instid0(VALU_DEP_3) | instskip(NEXT) | instid1(VALU_DEP_4)
	v_fma_f32 v4, v44, v5, -v37
	v_fmac_f32_e32 v38, v46, v6
	v_fma_f32 v6, v46, v7, -v39
	v_fmac_f32_e32 v45, v40, v8
	v_fma_f32 v9, v40, v9, -v41
	s_wait_dscnt 0x3
	v_dual_mul_f32 v8, v29, v13 :: v_dual_mul_f32 v7, v43, v11
	v_mul_f32_e32 v5, v43, v10
	v_mul_f32_e32 v29, v29, v12
	s_delay_alu instid0(VALU_DEP_3) | instskip(SKIP_1) | instid1(VALU_DEP_4)
	v_dual_fmac_f32 v8, v28, v12 :: v_dual_fmac_f32 v7, v42, v10
	v_add_f32_e32 v12, v3, v4
	v_fma_f32 v10, v42, v11, -v5
	s_wait_dscnt 0x1
	v_mul_f32_e32 v11, v31, v15
	v_fma_f32 v13, v28, v13, -v29
	v_mul_f32_e32 v28, v31, v14
	v_dual_add_f32 v12, v12, v6 :: v_dual_add_f32 v5, v2, v36
	s_delay_alu instid0(VALU_DEP_4) | instskip(NEXT) | instid1(VALU_DEP_3)
	v_dual_fmac_f32 v11, v30, v14 :: v_dual_mul_f32 v14, v25, v17
	v_fma_f32 v15, v30, v15, -v28
	s_delay_alu instid0(VALU_DEP_3) | instskip(SKIP_1) | instid1(VALU_DEP_4)
	v_dual_add_f32 v12, v12, v9 :: v_dual_add_f32 v5, v5, v38
	v_mul_f32_e32 v25, v25, v16
	v_fmac_f32_e32 v14, v24, v16
	s_wait_dscnt 0x0
	v_mul_f32_e32 v16, v27, v19
	v_dual_add_f32 v12, v12, v10 :: v_dual_add_f32 v5, v5, v45
	v_fma_f32 v17, v24, v17, -v25
	v_mul_f32_e32 v24, v27, v18
	s_delay_alu instid0(VALU_DEP_4) | instskip(SKIP_2) | instid1(VALU_DEP_4)
	v_fmac_f32_e32 v16, v26, v18
	v_dual_mul_f32 v18, v33, v21 :: v_dual_mul_f32 v25, v35, v23
	v_dual_add_f32 v5, v5, v7 :: v_dual_add_f32 v12, v12, v13
	v_fma_f32 v19, v26, v19, -v24
	s_delay_alu instid0(VALU_DEP_3) | instskip(NEXT) | instid1(VALU_DEP_3)
	v_fmac_f32_e32 v25, v34, v22
	v_dual_add_f32 v5, v5, v8 :: v_dual_mul_f32 v24, v35, v22
	s_delay_alu instid0(VALU_DEP_4) | instskip(NEXT) | instid1(VALU_DEP_2)
	v_add_f32_e32 v12, v12, v15
	v_dual_add_f32 v5, v5, v11 :: v_dual_fmac_f32 v18, v32, v20
	s_delay_alu instid0(VALU_DEP_3) | instskip(SKIP_1) | instid1(VALU_DEP_3)
	v_fma_f32 v23, v34, v23, -v24
	v_mul_f32_e32 v20, v33, v20
	v_dual_add_f32 v5, v5, v14 :: v_dual_add_f32 v12, v12, v17
	s_delay_alu instid0(VALU_DEP_3) | instskip(NEXT) | instid1(VALU_DEP_3)
	v_add_f32_e32 v26, v4, v23
	v_fma_f32 v20, v32, v21, -v20
	v_add_f32_e32 v21, v36, v25
	s_delay_alu instid0(VALU_DEP_4) | instskip(SKIP_1) | instid1(VALU_DEP_4)
	v_dual_sub_f32 v22, v4, v23 :: v_dual_add_f32 v5, v5, v16
	v_add_f32_e32 v12, v12, v19
	v_dual_mul_f32 v28, 0x3f575c64, v26 :: v_dual_sub_f32 v43, v6, v20
	s_delay_alu instid0(VALU_DEP_3) | instskip(NEXT) | instid1(VALU_DEP_3)
	v_mul_f32_e32 v24, 0xbf0a6770, v22
	v_dual_add_f32 v4, v5, v18 :: v_dual_add_f32 v5, v12, v20
	v_sub_f32_e32 v12, v36, v25
	s_delay_alu instid0(VALU_DEP_3) | instskip(SKIP_1) | instid1(VALU_DEP_4)
	v_dual_add_f32 v44, v38, v18 :: v_dual_fmamk_f32 v27, v21, 0x3f575c64, v24
	v_fma_f32 v24, 0x3f575c64, v21, -v24
	v_add_f32_e32 v5, v5, v23
	v_mul_f32_e32 v35, 0xbf4178ce, v22
	s_delay_alu instid0(VALU_DEP_4) | instskip(SKIP_4) | instid1(VALU_DEP_3)
	v_dual_mul_f32 v32, 0xbf7d64f0, v22 :: v_dual_add_f32 v23, v2, v27
	v_add_f32_e32 v4, v4, v25
	v_dual_fmamk_f32 v25, v12, 0x3f0a6770, v28 :: v_dual_add_f32 v24, v2, v24
	v_mul_f32_e32 v27, 0xbf68dda4, v22
	v_fmamk_f32 v37, v21, 0xbf27a4f4, v35
	v_dual_mul_f32 v22, 0xbe903f40, v22 :: v_dual_add_f32 v25, v3, v25
	v_mul_f32_e32 v29, 0x3ed4b147, v26
	s_delay_alu instid0(VALU_DEP_3) | instskip(SKIP_1) | instid1(VALU_DEP_4)
	v_dual_mul_f32 v34, 0xbe11bafb, v26 :: v_dual_add_f32 v37, v2, v37
	v_mul_f32_e32 v39, 0xbf27a4f4, v26
	v_dual_mul_f32 v26, 0xbf75a155, v26 :: v_dual_fmamk_f32 v41, v21, 0xbf75a155, v22
	s_delay_alu instid0(VALU_DEP_3) | instskip(SKIP_1) | instid1(VALU_DEP_4)
	v_fmamk_f32 v36, v12, 0x3f7d64f0, v34
	v_fmamk_f32 v31, v12, 0x3f68dda4, v29
	;; [unrolled: 1-line block ×3, first 2 shown]
	s_delay_alu instid0(VALU_DEP_4) | instskip(NEXT) | instid1(VALU_DEP_4)
	v_fmamk_f32 v42, v12, 0x3e903f40, v26
	v_dual_fmamk_f32 v33, v21, 0xbe11bafb, v32 :: v_dual_add_f32 v36, v3, v36
	v_fma_f32 v35, 0xbf27a4f4, v21, -v35
	s_delay_alu instid0(VALU_DEP_4) | instskip(NEXT) | instid1(VALU_DEP_4)
	v_add_f32_e32 v40, v3, v40
	v_dual_fmac_f32 v39, 0xbf4178ce, v12 :: v_dual_add_f32 v42, v3, v42
	s_delay_alu instid0(VALU_DEP_4) | instskip(SKIP_1) | instid1(VALU_DEP_3)
	v_dual_fmac_f32 v34, 0xbf7d64f0, v12 :: v_dual_add_f32 v33, v2, v33
	v_fma_f32 v32, 0xbe11bafb, v21, -v32
	v_add_f32_e32 v39, v3, v39
	s_delay_alu instid0(VALU_DEP_3) | instskip(SKIP_3) | instid1(VALU_DEP_4)
	v_dual_fmac_f32 v29, 0xbf68dda4, v12 :: v_dual_add_f32 v34, v3, v34
	v_fmamk_f32 v30, v21, 0x3ed4b147, v27
	v_fma_f32 v27, 0x3ed4b147, v21, -v27
	v_add_f32_e32 v41, v2, v41
	v_add_f32_e32 v29, v3, v29
	v_fma_f32 v21, 0xbf75a155, v21, -v22
	v_dual_add_f32 v30, v2, v30 :: v_dual_add_f32 v31, v3, v31
	v_dual_fmac_f32 v28, 0xbf0a6770, v12 :: v_dual_add_f32 v27, v2, v27
	v_add_f32_e32 v32, v2, v32
	v_add_f32_e32 v35, v2, v35
	;; [unrolled: 1-line block ×3, first 2 shown]
	s_delay_alu instid0(VALU_DEP_4) | instskip(SKIP_2) | instid1(VALU_DEP_1)
	v_dual_add_f32 v28, v3, v28 :: v_dual_mul_f32 v21, 0xbf4178ce, v43
	v_add_f32_e32 v6, v6, v20
	v_mul_f32_e32 v20, 0xbf68dda4, v43
	v_fmamk_f32 v22, v44, 0x3ed4b147, v20
	s_delay_alu instid0(VALU_DEP_1)
	v_dual_add_f32 v22, v22, v23 :: v_dual_fmamk_f32 v23, v44, 0xbf27a4f4, v21
	v_fmac_f32_e32 v26, 0xbe903f40, v12
	v_fma_f32 v21, 0xbf27a4f4, v44, -v21
	v_sub_f32_e32 v12, v38, v18
	v_mul_f32_e32 v18, 0x3ed4b147, v6
	v_add_f32_e32 v23, v23, v30
	v_add_f32_e32 v3, v3, v26
	v_dual_add_f32 v21, v21, v27 :: v_dual_mul_f32 v30, 0xbf75a155, v6
	s_delay_alu instid0(VALU_DEP_4) | instskip(SKIP_1) | instid1(VALU_DEP_3)
	v_fmamk_f32 v26, v12, 0x3f68dda4, v18
	v_fmac_f32_e32 v18, 0xbf68dda4, v12
	v_fmamk_f32 v27, v12, 0xbe903f40, v30
	s_delay_alu instid0(VALU_DEP_3) | instskip(SKIP_1) | instid1(VALU_DEP_3)
	v_add_f32_e32 v25, v26, v25
	v_fma_f32 v20, 0x3ed4b147, v44, -v20
	v_dual_mul_f32 v26, 0xbf27a4f4, v6 :: v_dual_add_f32 v27, v27, v36
	s_delay_alu instid0(VALU_DEP_2) | instskip(SKIP_1) | instid1(VALU_DEP_1)
	v_add_f32_e32 v20, v20, v24
	v_mul_f32_e32 v24, 0x3e903f40, v43
	v_fmamk_f32 v38, v44, 0xbf75a155, v24
	v_fma_f32 v24, 0xbf75a155, v44, -v24
	s_delay_alu instid0(VALU_DEP_1) | instskip(SKIP_3) | instid1(VALU_DEP_1)
	v_add_f32_e32 v24, v24, v32
	v_mul_f32_e32 v32, 0x3f0a6770, v43
	v_add_f32_e32 v18, v18, v28
	v_fmamk_f32 v28, v12, 0x3f4178ce, v26
	v_add_f32_e32 v28, v28, v31
	v_mul_f32_e32 v31, 0x3f7d64f0, v43
	s_delay_alu instid0(VALU_DEP_1) | instskip(SKIP_1) | instid1(VALU_DEP_2)
	v_fmamk_f32 v36, v44, 0xbe11bafb, v31
	v_fma_f32 v31, 0xbe11bafb, v44, -v31
	v_add_f32_e32 v36, v36, v37
	v_fmamk_f32 v37, v44, 0x3f575c64, v32
	s_delay_alu instid0(VALU_DEP_3) | instskip(SKIP_1) | instid1(VALU_DEP_3)
	v_add_f32_e32 v31, v31, v35
	v_fma_f32 v32, 0x3f575c64, v44, -v32
	v_dual_add_f32 v35, v37, v41 :: v_dual_fmac_f32 v26, 0xbf4178ce, v12
	v_sub_f32_e32 v37, v9, v19
	v_add_f32_e32 v9, v9, v19
	s_delay_alu instid0(VALU_DEP_4) | instskip(NEXT) | instid1(VALU_DEP_3)
	v_dual_add_f32 v19, v45, v16 :: v_dual_add_f32 v2, v32, v2
	v_mul_f32_e32 v32, 0x3e903f40, v37
	v_add_f32_e32 v26, v26, v29
	v_add_f32_e32 v29, v38, v33
	v_mul_f32_e32 v33, 0xbe11bafb, v6
	v_mul_f32_e32 v6, 0x3f575c64, v6
	;; [unrolled: 1-line block ×3, first 2 shown]
	s_delay_alu instid0(VALU_DEP_2) | instskip(SKIP_1) | instid1(VALU_DEP_1)
	v_fmamk_f32 v38, v12, 0xbf0a6770, v6
	v_fmac_f32_e32 v6, 0x3f0a6770, v12
	v_dual_add_f32 v3, v6, v3 :: v_dual_fmac_f32 v30, 0x3e903f40, v12
	s_delay_alu instid0(VALU_DEP_1) | instskip(SKIP_4) | instid1(VALU_DEP_3)
	v_add_f32_e32 v30, v30, v34
	v_fmamk_f32 v34, v12, 0xbf7d64f0, v33
	v_fmac_f32_e32 v33, 0x3f7d64f0, v12
	v_sub_f32_e32 v12, v45, v16
	v_mul_f32_e32 v16, 0xbe11bafb, v9
	v_dual_add_f32 v34, v34, v40 :: v_dual_add_f32 v33, v33, v39
	v_mul_f32_e32 v39, 0xbf7d64f0, v37
	s_delay_alu instid0(VALU_DEP_3) | instskip(NEXT) | instid1(VALU_DEP_2)
	v_fmamk_f32 v6, v12, 0x3f7d64f0, v16
	v_fmamk_f32 v40, v19, 0xbe11bafb, v39
	s_delay_alu instid0(VALU_DEP_2) | instskip(SKIP_2) | instid1(VALU_DEP_3)
	v_dual_add_f32 v6, v6, v25 :: v_dual_fmamk_f32 v25, v19, 0xbf75a155, v32
	v_fma_f32 v32, 0xbf75a155, v19, -v32
	v_fma_f32 v39, 0xbe11bafb, v19, -v39
	v_dual_add_f32 v22, v40, v22 :: v_dual_add_f32 v23, v25, v23
	s_delay_alu instid0(VALU_DEP_3) | instskip(NEXT) | instid1(VALU_DEP_3)
	v_dual_add_f32 v21, v32, v21 :: v_dual_fmac_f32 v16, 0xbf7d64f0, v12
	v_add_f32_e32 v20, v39, v20
	v_mul_f32_e32 v40, 0xbf75a155, v9
	s_delay_alu instid0(VALU_DEP_3) | instskip(SKIP_1) | instid1(VALU_DEP_3)
	v_add_f32_e32 v16, v16, v18
	v_mul_f32_e32 v18, 0x3f68dda4, v37
	v_fmamk_f32 v25, v12, 0xbe903f40, v40
	s_delay_alu instid0(VALU_DEP_2) | instskip(NEXT) | instid1(VALU_DEP_2)
	v_fmamk_f32 v39, v19, 0x3ed4b147, v18
	v_add_f32_e32 v25, v25, v28
	v_fma_f32 v18, 0x3ed4b147, v19, -v18
	s_delay_alu instid0(VALU_DEP_3)
	v_dual_add_f32 v28, v39, v29 :: v_dual_fmamk_f32 v29, v12, 0xbf68dda4, v41
	v_mul_f32_e32 v32, 0xbf0a6770, v37
	v_mul_f32_e32 v39, 0x3f575c64, v9
	;; [unrolled: 1-line block ×4, first 2 shown]
	v_add_f32_e32 v27, v29, v27
	v_fmamk_f32 v29, v19, 0x3f575c64, v32
	v_fmac_f32_e32 v41, 0x3f68dda4, v12
	v_fma_f32 v32, 0x3f575c64, v19, -v32
	s_delay_alu instid0(VALU_DEP_3) | instskip(NEXT) | instid1(VALU_DEP_2)
	v_dual_add_f32 v29, v29, v36 :: v_dual_add_f32 v36, v7, v14
	v_add_f32_e32 v31, v32, v31
	v_dual_sub_f32 v7, v7, v14 :: v_dual_add_f32 v18, v18, v24
	v_add_f32_e32 v24, v41, v30
	v_fmamk_f32 v30, v12, 0x3f0a6770, v39
	v_dual_fmac_f32 v39, 0xbf0a6770, v12 :: v_dual_add_f32 v38, v38, v42
	s_delay_alu instid0(VALU_DEP_2) | instskip(NEXT) | instid1(VALU_DEP_2)
	v_add_f32_e32 v30, v30, v34
	v_add_f32_e32 v32, v39, v33
	v_dual_sub_f32 v33, v10, v17 :: v_dual_fmamk_f32 v34, v19, 0xbf27a4f4, v37
	v_add_f32_e32 v10, v10, v17
	v_fma_f32 v19, 0xbf27a4f4, v19, -v37
	s_delay_alu instid0(VALU_DEP_3) | instskip(SKIP_1) | instid1(VALU_DEP_3)
	v_dual_mul_f32 v17, 0xbf4178ce, v33 :: v_dual_add_f32 v34, v34, v35
	v_fmamk_f32 v35, v12, 0x3f4178ce, v9
	v_dual_fmac_f32 v9, 0xbf4178ce, v12 :: v_dual_add_f32 v2, v19, v2
	s_delay_alu instid0(VALU_DEP_3) | instskip(SKIP_2) | instid1(VALU_DEP_4)
	v_fmamk_f32 v14, v36, 0xbf27a4f4, v17
	v_fma_f32 v17, 0xbf27a4f4, v36, -v17
	v_mul_f32_e32 v19, 0x3f7d64f0, v33
	v_add_f32_e32 v3, v9, v3
	v_add_f32_e32 v35, v35, v38
	s_delay_alu instid0(VALU_DEP_4) | instskip(SKIP_4) | instid1(VALU_DEP_3)
	v_dual_add_f32 v14, v14, v22 :: v_dual_add_f32 v17, v17, v20
	v_fmac_f32_e32 v40, 0x3e903f40, v12
	v_mul_f32_e32 v12, 0xbf27a4f4, v10
	v_fmamk_f32 v22, v36, 0xbe11bafb, v19
	v_fma_f32 v19, 0xbe11bafb, v36, -v19
	v_dual_add_f32 v26, v40, v26 :: v_dual_fmamk_f32 v9, v7, 0x3f4178ce, v12
	s_delay_alu instid0(VALU_DEP_1) | instskip(SKIP_1) | instid1(VALU_DEP_1)
	v_dual_add_f32 v19, v19, v21 :: v_dual_add_f32 v6, v9, v6
	v_mul_f32_e32 v9, 0xbe11bafb, v10
	v_fmamk_f32 v20, v7, 0xbf7d64f0, v9
	s_delay_alu instid0(VALU_DEP_1) | instskip(SKIP_1) | instid1(VALU_DEP_2)
	v_dual_fmac_f32 v9, 0x3f7d64f0, v7 :: v_dual_add_f32 v20, v20, v25
	v_mul_f32_e32 v25, 0x3f575c64, v10
	v_add_f32_e32 v21, v9, v26
	v_mul_f32_e32 v9, 0xbe903f40, v33
	s_delay_alu instid0(VALU_DEP_3) | instskip(SKIP_1) | instid1(VALU_DEP_3)
	v_fmamk_f32 v26, v7, 0x3f0a6770, v25
	v_fmac_f32_e32 v25, 0xbf0a6770, v7
	v_fmamk_f32 v37, v36, 0xbf75a155, v9
	v_fma_f32 v9, 0xbf75a155, v36, -v9
	s_delay_alu instid0(VALU_DEP_4) | instskip(NEXT) | instid1(VALU_DEP_4)
	v_dual_add_f32 v26, v26, v27 :: v_dual_mul_f32 v27, 0x3f68dda4, v33
	v_add_f32_e32 v24, v25, v24
	s_delay_alu instid0(VALU_DEP_4) | instskip(NEXT) | instid1(VALU_DEP_4)
	v_add_f32_e32 v25, v37, v29
	v_add_f32_e32 v31, v9, v31
	s_delay_alu instid0(VALU_DEP_4) | instskip(NEXT) | instid1(VALU_DEP_1)
	v_fmamk_f32 v29, v36, 0x3ed4b147, v27
	v_dual_fmac_f32 v12, 0xbf4178ce, v7 :: v_dual_add_f32 v29, v29, v34
	s_delay_alu instid0(VALU_DEP_1) | instskip(SKIP_4) | instid1(VALU_DEP_4)
	v_add_f32_e32 v12, v12, v16
	v_dual_mul_f32 v16, 0xbf0a6770, v33 :: v_dual_sub_f32 v33, v13, v15
	v_add_f32_e32 v15, v13, v15
	v_fma_f32 v13, 0x3ed4b147, v36, -v27
	v_sub_f32_e32 v27, v8, v11
	v_dual_mul_f32 v9, 0xbe903f40, v33 :: v_dual_add_f32 v22, v22, v23
	v_fmamk_f32 v23, v36, 0x3f575c64, v16
	v_fma_f32 v16, 0x3f575c64, v36, -v16
	v_mul_f32_e32 v36, 0xbf27a4f4, v15
	s_delay_alu instid0(VALU_DEP_3) | instskip(SKIP_1) | instid1(VALU_DEP_4)
	v_dual_add_f32 v34, v13, v2 :: v_dual_add_f32 v23, v23, v28
	v_mul_f32_e32 v28, 0xbf75a155, v10
	v_add_f32_e32 v16, v16, v18
	s_delay_alu instid0(VALU_DEP_2) | instskip(SKIP_1) | instid1(VALU_DEP_1)
	v_fmamk_f32 v18, v7, 0x3e903f40, v28
	v_fmac_f32_e32 v28, 0xbe903f40, v7
	v_add_f32_e32 v28, v28, v32
	v_add_f32_e32 v32, v8, v11
	v_mul_f32_e32 v10, 0x3ed4b147, v10
	v_dual_mul_f32 v11, 0x3f575c64, v15 :: v_dual_add_f32 v18, v18, v30
	s_delay_alu instid0(VALU_DEP_2) | instskip(NEXT) | instid1(VALU_DEP_1)
	v_fmamk_f32 v30, v7, 0xbf68dda4, v10
	v_add_f32_e32 v30, v30, v35
	v_fmac_f32_e32 v10, 0x3f68dda4, v7
	v_fmamk_f32 v7, v32, 0xbf75a155, v9
	s_delay_alu instid0(VALU_DEP_2) | instskip(NEXT) | instid1(VALU_DEP_2)
	v_dual_add_f32 v35, v10, v3 :: v_dual_mul_f32 v10, 0x3f0a6770, v33
	v_add_f32_e32 v2, v7, v14
	v_fmamk_f32 v14, v27, 0x3f4178ce, v36
	v_fmac_f32_e32 v36, 0xbf4178ce, v27
	v_mul_f32_e32 v8, 0xbf75a155, v15
	v_fma_f32 v7, 0xbf75a155, v32, -v9
	v_fmamk_f32 v9, v32, 0x3f575c64, v10
	v_fma_f32 v10, 0x3f575c64, v32, -v10
	s_delay_alu instid0(VALU_DEP_4) | instskip(SKIP_1) | instid1(VALU_DEP_2)
	v_fmamk_f32 v3, v27, 0x3e903f40, v8
	v_fmac_f32_e32 v8, 0xbe903f40, v27
	v_dual_add_f32 v10, v10, v19 :: v_dual_add_f32 v3, v3, v6
	s_delay_alu instid0(VALU_DEP_2) | instskip(SKIP_4) | instid1(VALU_DEP_4)
	v_dual_add_f32 v6, v7, v17 :: v_dual_add_f32 v7, v8, v12
	v_dual_add_f32 v8, v9, v22 :: v_dual_fmamk_f32 v9, v27, 0xbf0a6770, v11
	v_mul_f32_e32 v12, 0xbf4178ce, v33
	v_fmac_f32_e32 v11, 0x3f0a6770, v27
	v_mul_f32_e32 v17, 0x3f68dda4, v33
	v_add_f32_e32 v9, v9, v20
	s_delay_alu instid0(VALU_DEP_4) | instskip(SKIP_3) | instid1(VALU_DEP_4)
	v_fmamk_f32 v13, v32, 0xbf27a4f4, v12
	v_fma_f32 v19, 0xbf27a4f4, v32, -v12
	v_dual_mul_f32 v20, 0x3ed4b147, v15 :: v_dual_add_f32 v11, v11, v21
	v_mul_f32_e32 v15, 0xbe11bafb, v15
	v_dual_add_f32 v12, v13, v23 :: v_dual_add_f32 v13, v14, v26
	s_delay_alu instid0(VALU_DEP_4) | instskip(NEXT) | instid1(VALU_DEP_4)
	v_add_f32_e32 v14, v19, v16
	v_fmamk_f32 v19, v27, 0xbf68dda4, v20
	v_fmamk_f32 v21, v32, 0x3ed4b147, v17
	v_fma_f32 v22, 0x3ed4b147, v32, -v17
	v_fmac_f32_e32 v20, 0x3f68dda4, v27
	v_fmamk_f32 v23, v27, 0x3f7d64f0, v15
	s_delay_alu instid0(VALU_DEP_4) | instskip(NEXT) | instid1(VALU_DEP_4)
	v_dual_add_f32 v17, v19, v18 :: v_dual_add_f32 v16, v21, v25
	v_dual_mul_f32 v21, 0xbf7d64f0, v33 :: v_dual_add_f32 v18, v22, v31
	v_fmac_f32_e32 v15, 0xbf7d64f0, v27
	v_add_f32_e32 v19, v20, v28
	s_delay_alu instid0(VALU_DEP_3) | instskip(SKIP_3) | instid1(VALU_DEP_4)
	v_fmamk_f32 v22, v32, 0xbe11bafb, v21
	v_fma_f32 v25, 0xbe11bafb, v32, -v21
	v_add_f32_e32 v21, v23, v30
	v_add_f32_e32 v23, v15, v35
	v_dual_add_f32 v15, v36, v24 :: v_dual_add_f32 v20, v22, v29
	s_delay_alu instid0(VALU_DEP_4)
	v_add_f32_e32 v22, v25, v34
	ds_store_2addr_b64 v100, v[4:5], v[2:3] offset1:55
	ds_store_2addr_b64 v100, v[8:9], v[12:13] offset0:110 offset1:165
	ds_store_2addr_b64 v1, v[16:17], v[20:21] offset0:92 offset1:147
	;; [unrolled: 1-line block ×4, first 2 shown]
	ds_store_b64 v100, v[6:7] offset:4400
	global_wb scope:SCOPE_SE
	s_wait_dscnt 0x0
	s_barrier_signal -1
	s_barrier_wait -1
	global_inv scope:SCOPE_SE
	ds_load_2addr_b64 v[2:5], v100 offset1:55
	ds_load_b64 v[36:37], v100 offset:4400
	v_mad_co_u64_u32 v[14:15], null, s6, v72, 0
	v_mad_co_u64_u32 v[20:21], null, s4, v99, 0
	s_wait_dscnt 0x1
	v_mul_f32_e32 v6, v94, v3
	s_wait_dscnt 0x0
	v_dual_mul_f32 v7, v94, v2 :: v_dual_mul_f32 v46, v88, v37
	s_delay_alu instid0(VALU_DEP_2) | instskip(NEXT) | instid1(VALU_DEP_2)
	v_dual_mul_f32 v47, v88, v36 :: v_dual_fmac_f32 v6, v93, v2
	v_fma_f32 v7, v93, v3, -v7
	s_delay_alu instid0(VALU_DEP_3) | instskip(NEXT) | instid1(VALU_DEP_3)
	v_fmac_f32_e32 v46, v87, v36
	v_fma_f32 v48, v87, v37, -v47
	s_delay_alu instid0(VALU_DEP_4) | instskip(NEXT) | instid1(VALU_DEP_4)
	v_cvt_f64_f32_e32 v[2:3], v6
	v_cvt_f64_f32_e32 v[10:11], v7
	ds_load_2addr_b64 v[6:9], v100 offset0:110 offset1:165
	v_cvt_f64_f32_e32 v[46:47], v46
	v_cvt_f64_f32_e32 v[48:49], v48
	s_wait_dscnt 0x0
	v_mul_f32_e32 v30, v76, v9
	v_mul_f32_e32 v32, v76, v8
	s_delay_alu instid0(VALU_DEP_2) | instskip(NEXT) | instid1(VALU_DEP_2)
	v_fmac_f32_e32 v30, v75, v8
	v_fma_f32 v9, v75, v9, -v32
	s_delay_alu instid0(VALU_DEP_2)
	v_cvt_f64_f32_e32 v[30:31], v30
	s_wait_alu 0xfffe
	v_mul_f64_e32 v[16:17], s[2:3], v[2:3]
	v_mul_f64_e32 v[18:19], s[2:3], v[10:11]
	v_mul_f32_e32 v2, v90, v5
	ds_load_2addr_b64 v[10:13], v1 offset0:92 offset1:147
	v_mul_f32_e32 v1, v90, v4
	v_dual_mul_f32 v3, v92, v7 :: v_dual_fmac_f32 v2, v89, v4
	v_mul_f32_e32 v4, v92, v6
	s_delay_alu instid0(VALU_DEP_3) | instskip(NEXT) | instid1(VALU_DEP_3)
	v_fma_f32 v1, v89, v5, -v1
	v_fmac_f32_e32 v3, v91, v6
	s_delay_alu instid0(VALU_DEP_4) | instskip(NEXT) | instid1(VALU_DEP_4)
	v_cvt_f64_f32_e32 v[22:23], v2
	v_fma_f32 v5, v91, v7, -v4
	s_delay_alu instid0(VALU_DEP_4) | instskip(NEXT) | instid1(VALU_DEP_4)
	v_cvt_f64_f32_e32 v[24:25], v1
	v_cvt_f64_f32_e32 v[26:27], v3
	ds_load_2addr_b64 v[1:4], v0 offset0:74 offset1:129
	v_cvt_f64_f32_e32 v[28:29], v5
	ds_load_2addr_b64 v[5:8], v0 offset0:184 offset1:239
	s_wait_dscnt 0x2
	v_mul_f32_e32 v32, v84, v12
	v_mul_f32_e32 v0, v82, v11
	v_dual_mul_f32 v33, v82, v10 :: v_dual_mul_f32 v34, v84, v13
	s_delay_alu instid0(VALU_DEP_3) | instskip(NEXT) | instid1(VALU_DEP_3)
	v_fma_f32 v13, v83, v13, -v32
	v_fmac_f32_e32 v0, v81, v10
	v_cvt_f64_f32_e32 v[9:10], v9
	s_delay_alu instid0(VALU_DEP_4)
	v_fma_f32 v33, v81, v11, -v33
	v_fmac_f32_e32 v34, v83, v12
	v_cvt_f64_f32_e32 v[38:39], v13
	v_cvt_f64_f32_e32 v[11:12], v0
	s_wait_dscnt 0x1
	v_mul_f32_e32 v41, v78, v3
	v_mul_f32_e32 v40, v78, v4
	s_wait_dscnt 0x0
	v_dual_mul_f32 v13, v74, v1 :: v_dual_mul_f32 v44, v80, v6
	v_mul_f32_e32 v0, v74, v2
	v_fma_f32 v4, v77, v4, -v41
	v_cvt_f64_f32_e32 v[32:33], v33
	s_delay_alu instid0(VALU_DEP_4) | instskip(SKIP_1) | instid1(VALU_DEP_4)
	v_fma_f32 v2, v73, v2, -v13
	v_dual_fmac_f32 v44, v79, v5 :: v_dual_mul_f32 v13, v86, v8
	v_cvt_f64_f32_e32 v[42:43], v4
	v_dual_mul_f32 v4, v80, v5 :: v_dual_mul_f32 v5, v86, v7
	v_fmac_f32_e32 v0, v73, v1
	s_delay_alu instid0(VALU_DEP_4)
	v_fmac_f32_e32 v13, v85, v7
	v_fmac_f32_e32 v40, v77, v3
	v_cvt_f64_f32_e32 v[34:35], v34
	v_fma_f32 v4, v79, v6, -v4
	v_fma_f32 v8, v85, v8, -v5
	v_cvt_f64_f32_e32 v[0:1], v0
	v_cvt_f64_f32_e32 v[2:3], v2
	;; [unrolled: 1-line block ×7, first 2 shown]
	v_mad_co_u64_u32 v[50:51], null, s7, v72, v[15:16]
	v_mov_b32_e32 v8, v21
	v_mul_f64_e32 v[22:23], s[2:3], v[22:23]
	v_mul_f64_e32 v[24:25], s[2:3], v[24:25]
	v_cvt_f32_f64_e32 v16, v[16:17]
	v_mul_f64_e32 v[26:27], s[2:3], v[26:27]
	v_mad_co_u64_u32 v[51:52], null, s5, v99, v[8:9]
	v_mov_b32_e32 v15, v50
	v_mul_f64_e32 v[28:29], s[2:3], v[28:29]
	v_cvt_f32_f64_e32 v17, v[18:19]
	v_mul_f64_e32 v[18:19], s[2:3], v[30:31]
	v_mul_f64_e32 v[8:9], s[2:3], v[9:10]
	v_lshlrev_b64_e32 v[13:14], 3, v[14:15]
	v_mov_b32_e32 v21, v51
	v_mul_f64_e32 v[10:11], s[2:3], v[11:12]
	v_mul_f64_e32 v[30:31], s[2:3], v[32:33]
	s_delay_alu instid0(VALU_DEP_4)
	v_add_co_u32 v50, vcc_lo, s0, v13
	s_wait_alu 0xfffd
	v_add_co_ci_u32_e32 v51, vcc_lo, s1, v14, vcc_lo
	v_lshlrev_b64_e32 v[12:13], 3, v[20:21]
	v_mul_f64_e32 v[20:21], s[2:3], v[38:39]
	s_mul_u64 s[0:1], s[4:5], 0x1b8
	v_mul_f64_e32 v[14:15], s[2:3], v[34:35]
	v_mul_f64_e32 v[34:35], s[2:3], v[42:43]
	;; [unrolled: 1-line block ×11, first 2 shown]
	v_add_co_u32 v12, vcc_lo, v50, v12
	v_cvt_f32_f64_e32 v22, v[22:23]
	v_cvt_f32_f64_e32 v23, v[24:25]
	s_wait_alu 0xfffd
	v_add_co_ci_u32_e32 v13, vcc_lo, v51, v13, vcc_lo
	v_cvt_f32_f64_e32 v26, v[26:27]
	s_wait_alu 0xfffe
	v_add_co_u32 v24, vcc_lo, v12, s0
	v_cvt_f32_f64_e32 v27, v[28:29]
	s_wait_alu 0xfffd
	v_add_co_ci_u32_e32 v25, vcc_lo, s1, v13, vcc_lo
	v_cvt_f32_f64_e32 v18, v[18:19]
	v_cvt_f32_f64_e32 v19, v[8:9]
	v_add_co_u32 v28, vcc_lo, v24, s0
	v_cvt_f32_f64_e32 v8, v[10:11]
	v_cvt_f32_f64_e32 v9, v[30:31]
	s_wait_alu 0xfffd
	v_add_co_ci_u32_e32 v29, vcc_lo, s1, v25, vcc_lo
	v_add_co_u32 v10, vcc_lo, v28, s0
	global_store_b64 v[12:13], v[16:17], off
	s_wait_alu 0xfffd
	v_add_co_ci_u32_e32 v11, vcc_lo, s1, v29, vcc_lo
	v_add_co_u32 v30, vcc_lo, v10, s0
	v_cvt_f32_f64_e32 v14, v[14:15]
	v_cvt_f32_f64_e32 v15, v[20:21]
	s_wait_alu 0xfffd
	v_add_co_ci_u32_e32 v31, vcc_lo, s1, v11, vcc_lo
	v_cvt_f32_f64_e32 v0, v[0:1]
	v_cvt_f32_f64_e32 v1, v[2:3]
	;; [unrolled: 1-line block ×10, first 2 shown]
	v_add_co_u32 v12, vcc_lo, v30, s0
	s_wait_alu 0xfffd
	v_add_co_ci_u32_e32 v13, vcc_lo, s1, v31, vcc_lo
	global_store_b64 v[24:25], v[22:23], off
	v_add_co_u32 v16, vcc_lo, v12, s0
	s_wait_alu 0xfffd
	v_add_co_ci_u32_e32 v17, vcc_lo, s1, v13, vcc_lo
	global_store_b64 v[28:29], v[26:27], off
	v_add_co_u32 v22, vcc_lo, v16, s0
	s_wait_alu 0xfffd
	v_add_co_ci_u32_e32 v23, vcc_lo, s1, v17, vcc_lo
	global_store_b64 v[10:11], v[18:19], off
	v_add_co_u32 v10, vcc_lo, v22, s0
	s_wait_alu 0xfffd
	v_add_co_ci_u32_e32 v11, vcc_lo, s1, v23, vcc_lo
	global_store_b64 v[30:31], v[8:9], off
	v_add_co_u32 v8, vcc_lo, v10, s0
	s_wait_alu 0xfffd
	v_add_co_ci_u32_e32 v9, vcc_lo, s1, v11, vcc_lo
	global_store_b64 v[12:13], v[14:15], off
	v_add_co_u32 v12, vcc_lo, v8, s0
	s_wait_alu 0xfffd
	v_add_co_ci_u32_e32 v13, vcc_lo, s1, v9, vcc_lo
	global_store_b64 v[16:17], v[0:1], off
	global_store_b64 v[22:23], v[2:3], off
	global_store_b64 v[10:11], v[20:21], off
	;; [unrolled: 1-line block ×4, first 2 shown]
.LBB0_10:
	s_nop 0
	s_sendmsg sendmsg(MSG_DEALLOC_VGPRS)
	s_endpgm
	.section	.rodata,"a",@progbits
	.p2align	6, 0x0
	.amdhsa_kernel bluestein_single_fwd_len605_dim1_sp_op_CI_CI
		.amdhsa_group_segment_fixed_size 4840
		.amdhsa_private_segment_fixed_size 0
		.amdhsa_kernarg_size 104
		.amdhsa_user_sgpr_count 2
		.amdhsa_user_sgpr_dispatch_ptr 0
		.amdhsa_user_sgpr_queue_ptr 0
		.amdhsa_user_sgpr_kernarg_segment_ptr 1
		.amdhsa_user_sgpr_dispatch_id 0
		.amdhsa_user_sgpr_private_segment_size 0
		.amdhsa_wavefront_size32 1
		.amdhsa_uses_dynamic_stack 0
		.amdhsa_enable_private_segment 0
		.amdhsa_system_sgpr_workgroup_id_x 1
		.amdhsa_system_sgpr_workgroup_id_y 0
		.amdhsa_system_sgpr_workgroup_id_z 0
		.amdhsa_system_sgpr_workgroup_info 0
		.amdhsa_system_vgpr_workitem_id 0
		.amdhsa_next_free_vgpr 204
		.amdhsa_next_free_sgpr 20
		.amdhsa_reserve_vcc 1
		.amdhsa_float_round_mode_32 0
		.amdhsa_float_round_mode_16_64 0
		.amdhsa_float_denorm_mode_32 3
		.amdhsa_float_denorm_mode_16_64 3
		.amdhsa_fp16_overflow 0
		.amdhsa_workgroup_processor_mode 1
		.amdhsa_memory_ordered 1
		.amdhsa_forward_progress 0
		.amdhsa_round_robin_scheduling 0
		.amdhsa_exception_fp_ieee_invalid_op 0
		.amdhsa_exception_fp_denorm_src 0
		.amdhsa_exception_fp_ieee_div_zero 0
		.amdhsa_exception_fp_ieee_overflow 0
		.amdhsa_exception_fp_ieee_underflow 0
		.amdhsa_exception_fp_ieee_inexact 0
		.amdhsa_exception_int_div_zero 0
	.end_amdhsa_kernel
	.text
.Lfunc_end0:
	.size	bluestein_single_fwd_len605_dim1_sp_op_CI_CI, .Lfunc_end0-bluestein_single_fwd_len605_dim1_sp_op_CI_CI
                                        ; -- End function
	.section	.AMDGPU.csdata,"",@progbits
; Kernel info:
; codeLenInByte = 15104
; NumSgprs: 22
; NumVgprs: 204
; ScratchSize: 0
; MemoryBound: 0
; FloatMode: 240
; IeeeMode: 1
; LDSByteSize: 4840 bytes/workgroup (compile time only)
; SGPRBlocks: 2
; VGPRBlocks: 25
; NumSGPRsForWavesPerEU: 22
; NumVGPRsForWavesPerEU: 204
; Occupancy: 7
; WaveLimiterHint : 1
; COMPUTE_PGM_RSRC2:SCRATCH_EN: 0
; COMPUTE_PGM_RSRC2:USER_SGPR: 2
; COMPUTE_PGM_RSRC2:TRAP_HANDLER: 0
; COMPUTE_PGM_RSRC2:TGID_X_EN: 1
; COMPUTE_PGM_RSRC2:TGID_Y_EN: 0
; COMPUTE_PGM_RSRC2:TGID_Z_EN: 0
; COMPUTE_PGM_RSRC2:TIDIG_COMP_CNT: 0
	.text
	.p2alignl 7, 3214868480
	.fill 96, 4, 3214868480
	.type	__hip_cuid_7b6ccd92251393c8,@object ; @__hip_cuid_7b6ccd92251393c8
	.section	.bss,"aw",@nobits
	.globl	__hip_cuid_7b6ccd92251393c8
__hip_cuid_7b6ccd92251393c8:
	.byte	0                               ; 0x0
	.size	__hip_cuid_7b6ccd92251393c8, 1

	.ident	"AMD clang version 19.0.0git (https://github.com/RadeonOpenCompute/llvm-project roc-6.4.0 25133 c7fe45cf4b819c5991fe208aaa96edf142730f1d)"
	.section	".note.GNU-stack","",@progbits
	.addrsig
	.addrsig_sym __hip_cuid_7b6ccd92251393c8
	.amdgpu_metadata
---
amdhsa.kernels:
  - .args:
      - .actual_access:  read_only
        .address_space:  global
        .offset:         0
        .size:           8
        .value_kind:     global_buffer
      - .actual_access:  read_only
        .address_space:  global
        .offset:         8
        .size:           8
        .value_kind:     global_buffer
      - .actual_access:  read_only
        .address_space:  global
        .offset:         16
        .size:           8
        .value_kind:     global_buffer
      - .actual_access:  read_only
        .address_space:  global
        .offset:         24
        .size:           8
        .value_kind:     global_buffer
      - .actual_access:  read_only
        .address_space:  global
        .offset:         32
        .size:           8
        .value_kind:     global_buffer
      - .offset:         40
        .size:           8
        .value_kind:     by_value
      - .address_space:  global
        .offset:         48
        .size:           8
        .value_kind:     global_buffer
      - .address_space:  global
        .offset:         56
        .size:           8
        .value_kind:     global_buffer
      - .address_space:  global
        .offset:         64
        .size:           8
        .value_kind:     global_buffer
      - .address_space:  global
        .offset:         72
        .size:           8
        .value_kind:     global_buffer
      - .offset:         80
        .size:           4
        .value_kind:     by_value
      - .address_space:  global
        .offset:         88
        .size:           8
        .value_kind:     global_buffer
      - .address_space:  global
        .offset:         96
        .size:           8
        .value_kind:     global_buffer
    .group_segment_fixed_size: 4840
    .kernarg_segment_align: 8
    .kernarg_segment_size: 104
    .language:       OpenCL C
    .language_version:
      - 2
      - 0
    .max_flat_workgroup_size: 55
    .name:           bluestein_single_fwd_len605_dim1_sp_op_CI_CI
    .private_segment_fixed_size: 0
    .sgpr_count:     22
    .sgpr_spill_count: 0
    .symbol:         bluestein_single_fwd_len605_dim1_sp_op_CI_CI.kd
    .uniform_work_group_size: 1
    .uses_dynamic_stack: false
    .vgpr_count:     204
    .vgpr_spill_count: 0
    .wavefront_size: 32
    .workgroup_processor_mode: 1
amdhsa.target:   amdgcn-amd-amdhsa--gfx1201
amdhsa.version:
  - 1
  - 2
...

	.end_amdgpu_metadata
